;; amdgpu-corpus repo=ROCm/rocFFT kind=compiled arch=gfx906 opt=O3
	.text
	.amdgcn_target "amdgcn-amd-amdhsa--gfx906"
	.amdhsa_code_object_version 6
	.protected	bluestein_single_fwd_len9216_dim1_half_op_CI_CI ; -- Begin function bluestein_single_fwd_len9216_dim1_half_op_CI_CI
	.globl	bluestein_single_fwd_len9216_dim1_half_op_CI_CI
	.p2align	8
	.type	bluestein_single_fwd_len9216_dim1_half_op_CI_CI,@function
bluestein_single_fwd_len9216_dim1_half_op_CI_CI: ; @bluestein_single_fwd_len9216_dim1_half_op_CI_CI
; %bb.0:
	s_load_dwordx4 s[12:15], s[4:5], 0x28
	s_mov_b64 s[22:23], s[2:3]
	s_mov_b64 s[20:21], s[0:1]
	s_add_u32 s20, s20, s7
	s_mov_b32 s7, 0
	s_waitcnt lgkmcnt(0)
	v_mov_b32_e32 v1, s12
	v_mov_b32_e32 v2, s13
	v_cmp_lt_u64_e32 vcc, s[6:7], v[1:2]
	s_addc_u32 s21, s21, 0
	s_and_saveexec_b64 s[0:1], vcc
	s_cbranch_execz .LBB0_39
; %bb.1:
	s_load_dwordx4 s[8:11], s[4:5], 0x18
	v_mov_b32_e32 v27, s7
	v_mov_b32_e32 v26, s6
	v_lshlrev_b32_e32 v55, 2, v0
	v_mov_b32_e32 v10, 0
	s_waitcnt lgkmcnt(0)
	s_load_dwordx4 s[0:3], s[8:9], 0x0
	s_movk_i32 s8, 0x2000
	s_load_dwordx2 s[12:13], s[4:5], 0x38
	s_waitcnt lgkmcnt(0)
	v_mad_u64_u32 v[1:2], s[6:7], s2, v26, 0
	v_mad_u64_u32 v[3:4], s[6:7], s0, v0, 0
	s_load_dwordx2 s[6:7], s[4:5], 0x0
	v_mad_u64_u32 v[5:6], s[2:3], s3, v26, v[2:3]
	s_waitcnt lgkmcnt(0)
	s_nop 1
	global_load_dword v72, v55, s[6:7]
	v_mad_u64_u32 v[6:7], s[2:3], s1, v0, v[4:5]
	v_mov_b32_e32 v2, v5
	v_lshlrev_b64 v[1:2], 2, v[1:2]
	v_mov_b32_e32 v4, v6
	v_mov_b32_e32 v7, s15
	v_lshlrev_b64 v[3:4], 2, v[3:4]
	v_add_co_u32_e32 v1, vcc, s14, v1
	v_addc_co_u32_e32 v5, vcc, v7, v2, vcc
	v_add_co_u32_e32 v2, vcc, v1, v3
	v_addc_co_u32_e32 v3, vcc, v5, v4, vcc
	s_mul_i32 s2, s1, 0x900
	s_mul_hi_u32 s3, s0, 0x900
	v_mov_b32_e32 v1, s7
	v_add_co_u32_e32 v53, vcc, s6, v55
	s_add_i32 s3, s3, s2
	s_mul_i32 s2, s0, 0x900
	v_addc_co_u32_e32 v54, vcc, 0, v1, vcc
	s_lshl_b64 s[2:3], s[2:3], 2
	v_mov_b32_e32 v1, s3
	v_add_co_u32_e32 v4, vcc, s2, v2
	v_addc_co_u32_e32 v5, vcc, v3, v1, vcc
	global_load_dword v8, v[2:3], off
	global_load_dword v9, v[4:5], off
	v_add_co_u32_e32 v2, vcc, s8, v53
	v_addc_co_u32_e32 v3, vcc, 0, v54, vcc
	v_add_co_u32_e32 v4, vcc, s2, v4
	global_load_dword v71, v[2:3], off offset:1024
	v_or_b32_e32 v6, 0x1200, v0
	v_addc_co_u32_e32 v5, vcc, v5, v1, vcc
	global_load_dword v11, v[4:5], off
	v_lshlrev_b32_e32 v91, 2, v6
	global_load_dword v70, v91, s[6:7]
	global_load_dword v68, v55, s[6:7] offset:2048
	v_add_co_u32_e32 v4, vcc, s2, v4
	v_addc_co_u32_e32 v5, vcc, v5, v1, vcc
	s_movk_i32 s14, 0x6000
	s_mul_hi_u32 s15, s0, 0xffffe700
	v_add_co_u32_e32 v6, vcc, s14, v53
	s_mulk_i32 s1, 0xe700
	s_mul_i32 s14, s0, 0xffffe700
	s_sub_i32 s0, s15, s0
	s_add_i32 s15, s0, s1
	global_load_dword v12, v[4:5], off
	v_addc_co_u32_e32 v7, vcc, 0, v54, vcc
	s_lshl_b64 s[14:15], s[14:15], 2
	s_load_dwordx4 s[8:11], s[10:11], 0x0
	global_load_dword v69, v[6:7], off offset:3072
	global_load_dword v67, v[2:3], off offset:3072
	v_mov_b32_e32 v13, s15
	v_add_co_u32_e32 v2, vcc, s14, v4
	v_addc_co_u32_e32 v3, vcc, v5, v13, vcc
	global_load_dword v14, v[2:3], off
	v_add_co_u32_e32 v2, vcc, s2, v2
	v_addc_co_u32_e32 v3, vcc, v3, v1, vcc
	global_load_dword v18, v[2:3], off
	;; [unrolled: 3-line block ×3, first 2 shown]
	v_add_co_u32_e32 v2, vcc, s2, v2
	v_addc_co_u32_e32 v3, vcc, v3, v1, vcc
	s_movk_i32 s0, 0x7000
	global_load_dword v20, v[2:3], off
	s_waitcnt vmcnt(12)
	v_lshrrev_b32_e32 v4, 16, v8
	v_mul_f16_sdwa v5, v72, v8 dst_sel:DWORD dst_unused:UNUSED_PAD src0_sel:WORD_1 src1_sel:DWORD
	v_mul_f16_sdwa v6, v72, v4 dst_sel:DWORD dst_unused:UNUSED_PAD src0_sel:WORD_1 src1_sel:DWORD
	v_fma_f16 v4, v72, v4, -v5
	s_waitcnt vmcnt(11)
	v_lshrrev_b32_e32 v5, 16, v9
	v_fma_f16 v6, v72, v8, v6
	v_pack_b32_f16 v16, v6, v4
	s_waitcnt vmcnt(10)
	v_mul_f16_sdwa v7, v71, v9 dst_sel:DWORD dst_unused:UNUSED_PAD src0_sel:WORD_1 src1_sel:DWORD
	v_mul_f16_sdwa v8, v71, v5 dst_sel:DWORD dst_unused:UNUSED_PAD src0_sel:WORD_1 src1_sel:DWORD
	v_fma_f16 v5, v71, v5, -v7
	v_fma_f16 v4, v71, v9, v8
	s_waitcnt vmcnt(9)
	v_lshrrev_b32_e32 v7, 16, v11
	v_pack_b32_f16 v17, v4, v5
	s_waitcnt vmcnt(8)
	v_mul_f16_sdwa v15, v70, v11 dst_sel:DWORD dst_unused:UNUSED_PAD src0_sel:WORD_1 src1_sel:DWORD
	v_mul_f16_sdwa v6, v70, v7 dst_sel:DWORD dst_unused:UNUSED_PAD src0_sel:WORD_1 src1_sel:DWORD
	v_fma_f16 v7, v70, v7, -v15
	v_fma_f16 v4, v70, v11, v6
	v_pack_b32_f16 v11, v4, v7
	v_or_b32_e32 v4, 0x1400, v0
	v_lshlrev_b32_e32 v52, 2, v4
	global_load_dword v66, v52, s[6:7]
	v_add_co_u32_e32 v4, vcc, s0, v53
	v_addc_co_u32_e32 v5, vcc, 0, v54, vcc
	global_load_dword v65, v[4:5], off offset:1024
	v_add_co_u32_e32 v2, vcc, s14, v2
	v_or_b32_e32 v9, 0x400, v0
	v_addc_co_u32_e32 v3, vcc, v3, v13, vcc
	global_load_dword v21, v[2:3], off
	v_lshlrev_b32_e32 v6, 2, v9
	v_add_co_u32_e32 v2, vcc, s2, v2
	v_or_b32_e32 v8, 0x1600, v0
	global_load_dword v64, v6, s[6:7]
	v_addc_co_u32_e32 v3, vcc, v3, v1, vcc
	s_movk_i32 s0, 0x3000
	v_lshlrev_b32_e32 v51, 2, v8
	global_load_dword v62, v51, s[6:7]
	v_add_co_u32_e32 v6, vcc, s0, v53
	global_load_dword v22, v[2:3], off
	v_addc_co_u32_e32 v7, vcc, 0, v54, vcc
	global_load_dword v63, v[6:7], off offset:1024
	v_add_co_u32_e32 v2, vcc, s2, v2
	v_addc_co_u32_e32 v3, vcc, v3, v1, vcc
	global_load_dword v23, v[2:3], off
	v_add_co_u32_e32 v2, vcc, s2, v2
	v_addc_co_u32_e32 v3, vcc, v3, v1, vcc
	global_load_dword v24, v[2:3], off
	global_load_dword v61, v[4:5], off offset:3072
	v_add_co_u32_e32 v2, vcc, s14, v2
	v_or_b32_e32 v8, 0x600, v0
	v_addc_co_u32_e32 v3, vcc, v3, v13, vcc
	global_load_dword v13, v[2:3], off
	v_lshlrev_b32_e32 v50, 2, v8
	global_load_dword v60, v50, s[6:7]
	v_add_co_u32_e32 v2, vcc, s2, v2
	v_addc_co_u32_e32 v3, vcc, v3, v1, vcc
	global_load_dword v25, v[2:3], off
	global_load_dword v59, v[6:7], off offset:3072
	v_add_co_u32_e32 v4, vcc, s2, v2
	v_or_b32_e32 v6, 0x1800, v0
	v_addc_co_u32_e32 v5, vcc, v3, v1, vcc
	global_load_dword v7, v[4:5], off
	v_lshlrev_b32_e32 v49, 2, v6
	global_load_dword v58, v49, s[6:7]
	v_add_co_u32_e32 v3, vcc, s2, v4
	v_addc_co_u32_e32 v4, vcc, v5, v1, vcc
	s_mov_b32 s0, 0x8000
	v_add_co_u32_e32 v1, vcc, s0, v53
	global_load_dword v5, v[3:4], off
	v_addc_co_u32_e32 v2, vcc, 0, v54, vcc
	global_load_dword v56, v[1:2], off offset:1024
	s_waitcnt vmcnt(24)
	v_lshrrev_b32_e32 v15, 16, v12
	s_waitcnt vmcnt(23)
	v_mul_f16_sdwa v1, v69, v15 dst_sel:DWORD dst_unused:UNUSED_PAD src0_sel:WORD_1 src1_sel:DWORD
	v_mul_f16_sdwa v2, v69, v12 dst_sel:DWORD dst_unused:UNUSED_PAD src0_sel:WORD_1 src1_sel:DWORD
	v_fma_f16 v1, v69, v12, v1
	v_fma_f16 v2, v69, v15, -v2
	v_pack_b32_f16 v1, v1, v2
	s_waitcnt vmcnt(21)
	v_lshrrev_b32_e32 v2, 16, v14
	v_mul_f16_sdwa v6, v68, v2 dst_sel:DWORD dst_unused:UNUSED_PAD src0_sel:WORD_1 src1_sel:DWORD
	v_mul_f16_sdwa v12, v68, v14 dst_sel:DWORD dst_unused:UNUSED_PAD src0_sel:WORD_1 src1_sel:DWORD
	v_fma_f16 v6, v68, v14, v6
	v_fma_f16 v2, v68, v2, -v12
	v_pack_b32_f16 v2, v6, v2
	ds_write2st64_b32 v55, v16, v2 offset1:8
	s_waitcnt vmcnt(20)
	v_lshrrev_b32_e32 v2, 16, v18
	v_mul_f16_sdwa v6, v67, v2 dst_sel:DWORD dst_unused:UNUSED_PAD src0_sel:WORD_1 src1_sel:DWORD
	v_mul_f16_sdwa v12, v67, v18 dst_sel:DWORD dst_unused:UNUSED_PAD src0_sel:WORD_1 src1_sel:DWORD
	v_fma_f16 v6, v67, v18, v6
	v_fma_f16 v2, v67, v2, -v12
	v_pack_b32_f16 v2, v6, v2
	ds_write2st64_b32 v55, v17, v2 offset0:36 offset1:44
	s_waitcnt vmcnt(19)
	v_lshrrev_b32_e32 v2, 16, v19
	s_waitcnt vmcnt(17)
	v_mul_f16_sdwa v6, v66, v2 dst_sel:DWORD dst_unused:UNUSED_PAD src0_sel:WORD_1 src1_sel:DWORD
	v_mul_f16_sdwa v12, v66, v19 dst_sel:DWORD dst_unused:UNUSED_PAD src0_sel:WORD_1 src1_sel:DWORD
	v_fma_f16 v6, v66, v19, v6
	v_fma_f16 v2, v66, v2, -v12
	v_pack_b32_f16 v2, v6, v2
	ds_write2st64_b32 v55, v11, v2 offset0:72 offset1:80
	v_lshrrev_b32_e32 v2, 16, v20
	s_waitcnt vmcnt(16)
	v_mul_f16_sdwa v6, v65, v2 dst_sel:DWORD dst_unused:UNUSED_PAD src0_sel:WORD_1 src1_sel:DWORD
	v_mul_f16_sdwa v11, v65, v20 dst_sel:DWORD dst_unused:UNUSED_PAD src0_sel:WORD_1 src1_sel:DWORD
	v_fma_f16 v6, v65, v20, v6
	v_fma_f16 v2, v65, v2, -v11
	v_pack_b32_f16 v2, v6, v2
	ds_write2st64_b32 v55, v1, v2 offset0:108 offset1:116
	s_waitcnt vmcnt(15)
	v_lshrrev_b32_e32 v1, 16, v21
	s_waitcnt vmcnt(14)
	v_mul_f16_sdwa v2, v64, v1 dst_sel:DWORD dst_unused:UNUSED_PAD src0_sel:WORD_1 src1_sel:DWORD
	v_mul_f16_sdwa v6, v64, v21 dst_sel:DWORD dst_unused:UNUSED_PAD src0_sel:WORD_1 src1_sel:DWORD
	v_fma_f16 v2, v64, v21, v2
	v_fma_f16 v1, v64, v1, -v6
	v_pack_b32_f16 v1, v2, v1
	s_waitcnt vmcnt(12)
	v_lshrrev_b32_e32 v2, 16, v22
	s_waitcnt vmcnt(11)
	v_mul_f16_sdwa v6, v63, v2 dst_sel:DWORD dst_unused:UNUSED_PAD src0_sel:WORD_1 src1_sel:DWORD
	v_mul_f16_sdwa v11, v63, v22 dst_sel:DWORD dst_unused:UNUSED_PAD src0_sel:WORD_1 src1_sel:DWORD
	v_fma_f16 v6, v63, v22, v6
	v_fma_f16 v2, v63, v2, -v11
	v_pack_b32_f16 v2, v6, v2
	s_waitcnt vmcnt(10)
	v_lshrrev_b32_e32 v6, 16, v23
	v_mul_f16_sdwa v11, v62, v6 dst_sel:DWORD dst_unused:UNUSED_PAD src0_sel:WORD_1 src1_sel:DWORD
	v_mul_f16_sdwa v12, v62, v23 dst_sel:DWORD dst_unused:UNUSED_PAD src0_sel:WORD_1 src1_sel:DWORD
	v_fma_f16 v11, v62, v23, v11
	v_fma_f16 v6, v62, v6, -v12
	v_pack_b32_f16 v6, v11, v6
	s_waitcnt vmcnt(9)
	v_lshrrev_b32_e32 v11, 16, v24
	s_waitcnt vmcnt(8)
	v_mul_f16_sdwa v12, v61, v11 dst_sel:DWORD dst_unused:UNUSED_PAD src0_sel:WORD_1 src1_sel:DWORD
	v_mul_f16_sdwa v14, v61, v24 dst_sel:DWORD dst_unused:UNUSED_PAD src0_sel:WORD_1 src1_sel:DWORD
	v_fma_f16 v12, v61, v24, v12
	v_fma_f16 v11, v61, v11, -v14
	v_pack_b32_f16 v11, v12, v11
	s_waitcnt vmcnt(7)
	v_lshrrev_b32_e32 v12, 16, v13
	s_waitcnt vmcnt(6)
	v_mul_f16_sdwa v14, v60, v12 dst_sel:DWORD dst_unused:UNUSED_PAD src0_sel:WORD_1 src1_sel:DWORD
	v_fma_f16 v14, v60, v13, v14
	v_mul_f16_sdwa v13, v60, v13 dst_sel:DWORD dst_unused:UNUSED_PAD src0_sel:WORD_1 src1_sel:DWORD
	v_fma_f16 v12, v60, v12, -v13
	v_pack_b32_f16 v12, v14, v12
	ds_write2st64_b32 v55, v1, v12 offset0:16 offset1:24
	s_waitcnt vmcnt(5)
	v_lshrrev_b32_e32 v1, 16, v25
	s_waitcnt vmcnt(4)
	v_mul_f16_sdwa v12, v59, v1 dst_sel:DWORD dst_unused:UNUSED_PAD src0_sel:WORD_1 src1_sel:DWORD
	v_mul_f16_sdwa v13, v59, v25 dst_sel:DWORD dst_unused:UNUSED_PAD src0_sel:WORD_1 src1_sel:DWORD
	v_fma_f16 v12, v59, v25, v12
	v_fma_f16 v1, v59, v1, -v13
	v_pack_b32_f16 v1, v12, v1
	ds_write2st64_b32 v55, v2, v1 offset0:52 offset1:60
	s_waitcnt vmcnt(3)
	v_lshrrev_b32_e32 v1, 16, v7
	s_waitcnt vmcnt(2)
	v_mul_f16_sdwa v2, v58, v1 dst_sel:DWORD dst_unused:UNUSED_PAD src0_sel:WORD_1 src1_sel:DWORD
	v_fma_f16 v2, v58, v7, v2
	v_mul_f16_sdwa v7, v58, v7 dst_sel:DWORD dst_unused:UNUSED_PAD src0_sel:WORD_1 src1_sel:DWORD
	v_fma_f16 v1, v58, v1, -v7
	v_pack_b32_f16 v1, v2, v1
	ds_write2st64_b32 v55, v6, v1 offset0:88 offset1:96
	s_waitcnt vmcnt(1)
	v_lshrrev_b32_e32 v1, 16, v5
	s_waitcnt vmcnt(0)
	v_mul_f16_sdwa v2, v56, v1 dst_sel:DWORD dst_unused:UNUSED_PAD src0_sel:WORD_1 src1_sel:DWORD
	v_fma_f16 v2, v56, v5, v2
	v_mul_f16_sdwa v5, v56, v5 dst_sel:DWORD dst_unused:UNUSED_PAD src0_sel:WORD_1 src1_sel:DWORD
	v_fma_f16 v1, v56, v1, -v5
	v_pack_b32_f16 v1, v2, v1
	ds_write2st64_b32 v55, v11, v1 offset0:124 offset1:132
	v_or_b32_e32 v1, 0x800, v0
	v_mov_b32_e32 v2, v10
	s_mov_b64 s[0:1], 0x900
	v_cmp_gt_u64_e64 s[0:1], s[0:1], v[1:2]
	v_lshlrev_b32_e32 v2, 2, v1
	buffer_store_dword v2, off, s[20:23], 0 ; 4-byte Folded Spill
	s_and_saveexec_b64 s[16:17], s[0:1]
	s_cbranch_execz .LBB0_3
; %bb.2:
	v_mov_b32_e32 v5, s15
	v_add_co_u32_e32 v2, vcc, s14, v3
	v_addc_co_u32_e32 v3, vcc, v4, v5, vcc
	global_load_dword v6, v[2:3], off
	v_mov_b32_e32 v11, s3
	v_add_co_u32_e32 v2, vcc, s2, v2
	v_mov_b32_e32 v13, 0x6800
	v_lshlrev_b32_e32 v4, 2, v1
	v_addc_co_u32_e32 v3, vcc, v3, v11, vcc
	s_movk_i32 s3, 0x4000
	v_lshl_or_b32 v13, v0, 2, v13
	global_load_dword v7, v4, s[6:7]
	global_load_dword v12, v[2:3], off
	s_nop 0
	global_load_dword v13, v13, s[6:7]
	v_add_co_u32_e32 v4, vcc, s3, v53
	v_addc_co_u32_e32 v5, vcc, 0, v54, vcc
	v_add_co_u32_e32 v2, vcc, s2, v2
	v_addc_co_u32_e32 v3, vcc, v3, v11, vcc
	global_load_dword v4, v[4:5], off offset:1024
	s_waitcnt vmcnt(3)
	v_mul_f16_sdwa v14, v7, v6 dst_sel:DWORD dst_unused:UNUSED_PAD src0_sel:WORD_1 src1_sel:DWORD
	global_load_dword v5, v[2:3], off
	v_add_co_u32_e32 v2, vcc, s2, v2
	v_addc_co_u32_e32 v3, vcc, v3, v11, vcc
	global_load_dword v11, v[2:3], off
	v_add_co_u32_e32 v2, vcc, 0x8000, v53
	v_addc_co_u32_e32 v3, vcc, 0, v54, vcc
	global_load_dword v2, v[2:3], off offset:3072
	v_lshrrev_b32_e32 v3, 16, v6
	v_mul_f16_sdwa v15, v7, v3 dst_sel:DWORD dst_unused:UNUSED_PAD src0_sel:WORD_1 src1_sel:DWORD
	v_fma_f16 v3, v7, v3, -v14
	s_waitcnt vmcnt(5)
	v_lshrrev_b32_e32 v14, 16, v12
	s_waitcnt vmcnt(3)
	v_mul_f16_sdwa v16, v4, v12 dst_sel:DWORD dst_unused:UNUSED_PAD src0_sel:WORD_1 src1_sel:DWORD
	v_fma_f16 v6, v7, v6, v15
	v_mul_f16_sdwa v7, v4, v14 dst_sel:DWORD dst_unused:UNUSED_PAD src0_sel:WORD_1 src1_sel:DWORD
	v_fma_f16 v14, v4, v14, -v16
	v_pack_b32_f16 v3, v6, v3
	v_fma_f16 v4, v4, v12, v7
	v_pack_b32_f16 v4, v4, v14
	ds_write2st64_b32 v55, v3, v4 offset0:32 offset1:68
	s_waitcnt vmcnt(2)
	v_lshrrev_b32_e32 v15, 16, v5
	v_mul_f16_sdwa v16, v13, v5 dst_sel:DWORD dst_unused:UNUSED_PAD src0_sel:WORD_1 src1_sel:DWORD
	v_mul_f16_sdwa v6, v13, v15 dst_sel:DWORD dst_unused:UNUSED_PAD src0_sel:WORD_1 src1_sel:DWORD
	v_fma_f16 v7, v13, v15, -v16
	v_fma_f16 v5, v13, v5, v6
	s_waitcnt vmcnt(1)
	v_lshrrev_b32_e32 v12, 16, v11
	v_pack_b32_f16 v3, v5, v7
	s_waitcnt vmcnt(0)
	v_mul_f16_sdwa v15, v2, v11 dst_sel:DWORD dst_unused:UNUSED_PAD src0_sel:WORD_1 src1_sel:DWORD
	v_mul_f16_sdwa v6, v2, v12 dst_sel:DWORD dst_unused:UNUSED_PAD src0_sel:WORD_1 src1_sel:DWORD
	v_fma_f16 v4, v2, v11, v6
	v_fma_f16 v2, v2, v12, -v15
	v_pack_b32_f16 v2, v4, v2
	ds_write2st64_b32 v55, v3, v2 offset0:104 offset1:140
.LBB0_3:
	s_or_b64 exec, exec, s[16:17]
	s_waitcnt vmcnt(0) lgkmcnt(0)
	s_barrier
	ds_read2st64_b32 v[17:18], v55 offset1:8
	ds_read2st64_b32 v[19:20], v55 offset0:36 offset1:44
	ds_read2st64_b32 v[15:16], v55 offset0:72 offset1:80
	;; [unrolled: 1-line block ×7, first 2 shown]
                                        ; implicit-def: $vgpr4
                                        ; implicit-def: $vgpr23
                                        ; implicit-def: $vgpr24
	s_and_saveexec_b64 s[2:3], s[0:1]
	s_cbranch_execz .LBB0_5
; %bb.4:
	ds_read2st64_b32 v[4:5], v55 offset0:32 offset1:68
	ds_read_b32 v23, v55 offset:26624
	ds_read_b32 v24, v55 offset:35840
.LBB0_5:
	s_or_b64 exec, exec, s[2:3]
	s_waitcnt lgkmcnt(5)
	v_pk_add_f16 v30, v18, v16 neg_lo:[0,1] neg_hi:[0,1]
	s_waitcnt lgkmcnt(4)
	v_pk_add_f16 v31, v20, v22 neg_lo:[0,1] neg_hi:[0,1]
	v_lshrrev_b32_e32 v16, 16, v30
	v_add_f16_e32 v33, v16, v31
	s_waitcnt lgkmcnt(1)
	v_pk_add_f16 v6, v2, v6 neg_lo:[0,1] neg_hi:[0,1]
	v_fma_f16 v35, v16, 2.0, -v33
	s_waitcnt lgkmcnt(0)
	v_pk_add_f16 v13, v11, v13 neg_lo:[0,1] neg_hi:[0,1]
	v_lshrrev_b32_e32 v16, 16, v6
	v_add_f16_e32 v37, v16, v13
	v_pk_add_f16 v43, v3, v7 neg_lo:[0,1] neg_hi:[0,1]
	v_fma_f16 v39, v16, 2.0, -v37
	v_pk_add_f16 v44, v12, v14 neg_lo:[0,1] neg_hi:[0,1]
	v_lshrrev_b32_e32 v7, 16, v43
	v_pk_add_f16 v16, v4, v23 neg_lo:[0,1] neg_hi:[0,1]
	v_pk_add_f16 v22, v5, v24 neg_lo:[0,1] neg_hi:[0,1]
	v_add_f16_e32 v46, v7, v44
	v_pk_fma_f16 v4, v4, 2.0, v16 op_sel_hi:[1,0,1] neg_lo:[0,0,1] neg_hi:[0,0,1]
	v_pk_fma_f16 v5, v5, 2.0, v22 op_sel_hi:[1,0,1] neg_lo:[0,0,1] neg_hi:[0,0,1]
	v_fma_f16 v48, v7, 2.0, -v46
	v_pk_add_f16 v7, v4, v5 neg_lo:[0,1] neg_hi:[0,1]
	v_pk_add_f16 v15, v17, v15 neg_lo:[0,1] neg_hi:[0,1]
	;; [unrolled: 1-line block ×3, first 2 shown]
	v_pk_fma_f16 v5, v4, 2.0, v7 op_sel_hi:[1,0,1] neg_lo:[0,0,1] neg_hi:[0,0,1]
	v_lshrrev_b32_e32 v4, 16, v16
	v_sub_f16_sdwa v25, v15, v21 dst_sel:DWORD dst_unused:UNUSED_PAD src0_sel:DWORD src1_sel:WORD_1
	v_add_f16_e32 v41, v22, v4
	v_lshrrev_b32_e32 v27, 16, v15
	v_fma_f16 v29, v15, 2.0, -v25
	v_fma_f16 v42, v4, 2.0, -v41
	v_pk_fma_f16 v4, v17, 2.0, v15 op_sel_hi:[1,0,1] neg_lo:[0,0,1] neg_hi:[0,0,1]
	v_pk_fma_f16 v15, v19, 2.0, v21 op_sel_hi:[1,0,1] neg_lo:[0,0,1] neg_hi:[0,0,1]
	v_add_f16_e32 v28, v27, v21
	v_pk_add_f16 v23, v4, v15 neg_lo:[0,1] neg_hi:[0,1]
	v_fma_f16 v27, v27, 2.0, -v28
	v_sub_f16_sdwa v32, v30, v31 dst_sel:DWORD dst_unused:UNUSED_PAD src0_sel:DWORD src1_sel:WORD_1
	v_pk_fma_f16 v21, v4, 2.0, v23 op_sel_hi:[1,0,1] neg_lo:[0,0,1] neg_hi:[0,0,1]
	v_pk_fma_f16 v4, v18, 2.0, v30 op_sel_hi:[1,0,1] neg_lo:[0,0,1] neg_hi:[0,0,1]
	;; [unrolled: 1-line block ×3, first 2 shown]
	v_or_b32_e32 v40, 0x200, v0
	v_fma_f16 v34, v30, 2.0, -v32
	v_sub_f16_sdwa v14, v16, v22 dst_sel:DWORD dst_unused:UNUSED_PAD src0_sel:DWORD src1_sel:WORD_1
	v_lshlrev_b32_e32 v57, 4, v0
	v_pack_b32_f16 v24, v25, v28
	v_pack_b32_f16 v22, v29, v27
	v_pk_add_f16 v19, v4, v15 neg_lo:[0,1] neg_hi:[0,1]
	s_load_dwordx2 s[14:15], s[4:5], 0x8
	v_sub_f16_sdwa v36, v6, v13 dst_sel:DWORD dst_unused:UNUSED_PAD src0_sel:DWORD src1_sel:WORD_1
	s_waitcnt lgkmcnt(0)
	s_barrier
	ds_write_b128 v57, v[21:24]
	v_lshlrev_b32_e32 v21, 4, v40
	v_pk_fma_f16 v17, v4, 2.0, v19 op_sel_hi:[1,0,1] neg_lo:[0,0,1] neg_hi:[0,0,1]
	v_pack_b32_f16 v20, v32, v33
	v_pack_b32_f16 v18, v34, v35
	v_pk_fma_f16 v2, v2, 2.0, v6 op_sel_hi:[1,0,1] neg_lo:[0,0,1] neg_hi:[0,0,1]
	v_pk_fma_f16 v4, v11, 2.0, v13 op_sel_hi:[1,0,1] neg_lo:[0,0,1] neg_hi:[0,0,1]
	v_fma_f16 v38, v6, 2.0, -v36
	ds_write_b128 v21, v[17:20]
	v_pk_add_f16 v19, v2, v4 neg_lo:[0,1] neg_hi:[0,1]
	v_sub_f16_sdwa v45, v43, v44 dst_sel:DWORD dst_unused:UNUSED_PAD src0_sel:DWORD src1_sel:WORD_1
	v_lshlrev_b32_e32 v15, 4, v9
	v_pk_fma_f16 v17, v2, 2.0, v19 op_sel_hi:[1,0,1] neg_lo:[0,0,1] neg_hi:[0,0,1]
	v_pack_b32_f16 v20, v36, v37
	v_pack_b32_f16 v18, v38, v39
	v_pk_fma_f16 v2, v3, 2.0, v43 op_sel_hi:[1,0,1] neg_lo:[0,0,1] neg_hi:[0,0,1]
	v_pk_fma_f16 v3, v12, 2.0, v44 op_sel_hi:[1,0,1] neg_lo:[0,0,1] neg_hi:[0,0,1]
	v_fma_f16 v47, v43, 2.0, -v45
	ds_write_b128 v15, v[17:20]
	v_pk_add_f16 v19, v2, v3 neg_lo:[0,1] neg_hi:[0,1]
	v_fma_f16 v16, v16, 2.0, -v14
	v_lshlrev_b32_e32 v79, 4, v8
	v_pk_fma_f16 v17, v2, 2.0, v19 op_sel_hi:[1,0,1] neg_lo:[0,0,1] neg_hi:[0,0,1]
	v_pack_b32_f16 v20, v45, v46
	v_pack_b32_f16 v18, v47, v48
	v_lshlrev_b32_e32 v1, 4, v1
	buffer_store_dword v21, off, s[20:23], 0 offset:8 ; 4-byte Folded Spill
	buffer_store_dword v15, off, s[20:23], 0 offset:12 ; 4-byte Folded Spill
	ds_write_b128 v79, v[17:20]
	buffer_store_dword v1, off, s[20:23], 0 offset:4 ; 4-byte Folded Spill
	s_and_saveexec_b64 s[2:3], s[0:1]
	s_cbranch_execz .LBB0_7
; %bb.6:
	buffer_load_dword v1, off, s[20:23], 0 offset:4 ; 4-byte Folded Reload
	s_mov_b32 s4, 0x5040100
	v_perm_b32 v8, v41, v14, s4
	v_perm_b32 v6, v42, v16, s4
	s_waitcnt vmcnt(0)
	ds_write_b128 v1, v[5:8]
.LBB0_7:
	s_or_b64 exec, exec, s[2:3]
	s_waitcnt vmcnt(0) lgkmcnt(0)
	s_barrier
	ds_read2st64_b32 v[11:12], v55 offset1:8
	ds_read2st64_b32 v[20:21], v55 offset0:18 offset1:26
	ds_read2st64_b32 v[22:23], v55 offset0:36 offset1:44
	;; [unrolled: 1-line block ×7, first 2 shown]
	s_mov_b64 s[2:3], 0x480
	v_cmp_gt_u64_e64 s[2:3], s[2:3], v[9:10]
                                        ; implicit-def: $vgpr34
                                        ; implicit-def: $vgpr6
                                        ; implicit-def: $vgpr8
                                        ; implicit-def: $vgpr38
                                        ; implicit-def: $vgpr10
                                        ; implicit-def: $vgpr43
	s_and_saveexec_b64 s[4:5], s[2:3]
	s_cbranch_execz .LBB0_9
; %bb.8:
	ds_read2st64_b32 v[15:16], v55 offset0:16 offset1:34
	ds_read2st64_b32 v[13:14], v55 offset0:52 offset1:70
	;; [unrolled: 1-line block ×4, first 2 shown]
	s_waitcnt lgkmcnt(3)
	v_lshrrev_b32_e32 v42, 16, v16
	s_waitcnt lgkmcnt(2)
	v_lshrrev_b32_e32 v41, 16, v14
	;; [unrolled: 2-line block ×3, first 2 shown]
	v_lshrrev_b32_e32 v10, 16, v38
	s_waitcnt lgkmcnt(0)
	v_lshrrev_b32_e32 v8, 16, v33
	v_lshrrev_b32_e32 v6, 16, v34
	v_mov_b32_e32 v7, v13
	v_mov_b32_e32 v5, v15
.LBB0_9:
	s_or_b64 exec, exec, s[4:5]
	v_and_b32_e32 v73, 3, v0
	v_mad_u64_u32 v[17:18], s[4:5], v73, 28, s[14:15]
	s_waitcnt lgkmcnt(6)
	v_lshrrev_b32_e32 v15, 16, v20
	s_waitcnt lgkmcnt(3)
	v_lshrrev_b32_e32 v46, 16, v27
	global_load_dwordx4 v[1:4], v[17:18], off
	s_nop 0
	global_load_dwordx3 v[17:19], v[17:18], off offset:16
	s_waitcnt lgkmcnt(2)
	v_lshrrev_b32_e32 v47, 16, v29
	v_lshrrev_b32_e32 v44, 16, v22
	;; [unrolled: 1-line block ×3, first 2 shown]
	s_waitcnt lgkmcnt(1)
	v_lshrrev_b32_e32 v48, 16, v31
	s_waitcnt lgkmcnt(0)
	v_lshrrev_b32_e32 v74, 16, v35
	v_lshrrev_b32_e32 v13, 16, v11
	s_mov_b32 s4, 0xb9a8
	v_lshrrev_b32_e32 v83, 16, v28
	v_lshrrev_b32_e32 v76, 16, v21
	;; [unrolled: 1-line block ×3, first 2 shown]
	s_movk_i32 s5, 0x39a8
	v_lshrrev_b32_e32 v75, 16, v12
	v_lshrrev_b32_e32 v80, 16, v23
	v_lshrrev_b32_e32 v81, 16, v25
	v_lshrrev_b32_e32 v85, 16, v32
	v_lshrrev_b32_e32 v86, 16, v36
	v_lshrrev_b32_e32 v87, 16, v7
	s_waitcnt vmcnt(0)
	s_barrier
	v_lshlrev_b32_e32 v39, 2, v40
	v_lshlrev_b32_e32 v97, 2, v9
	v_mul_f16_sdwa v88, v15, v1 dst_sel:DWORD dst_unused:UNUSED_PAD src0_sel:DWORD src1_sel:WORD_1
	v_mul_f16_sdwa v89, v20, v1 dst_sel:DWORD dst_unused:UNUSED_PAD src0_sel:DWORD src1_sel:WORD_1
	v_fma_f16 v20, v20, v1, -v88
	v_mul_f16_sdwa v88, v41, v3 dst_sel:DWORD dst_unused:UNUSED_PAD src0_sel:DWORD src1_sel:WORD_1
	v_fma_f16 v88, v14, v3, -v88
	v_mul_f16_sdwa v14, v14, v3 dst_sel:DWORD dst_unused:UNUSED_PAD src0_sel:DWORD src1_sel:WORD_1
	v_fma_f16 v14, v41, v3, v14
	v_mul_f16_sdwa v41, v43, v4 dst_sel:DWORD dst_unused:UNUSED_PAD src0_sel:DWORD src1_sel:WORD_1
	v_fma_f16 v41, v37, v4, -v41
	v_mul_f16_sdwa v37, v37, v4 dst_sel:DWORD dst_unused:UNUSED_PAD src0_sel:DWORD src1_sel:WORD_1
	v_fma_f16 v37, v43, v4, v37
	;; [unrolled: 4-line block ×3, first 2 shown]
	v_mul_f16_sdwa v38, v8, v18 dst_sel:DWORD dst_unused:UNUSED_PAD src0_sel:DWORD src1_sel:WORD_1
	v_fma_f16 v38, v33, v18, -v38
	v_mul_f16_sdwa v33, v33, v18 dst_sel:DWORD dst_unused:UNUSED_PAD src0_sel:DWORD src1_sel:WORD_1
	v_mul_f16_sdwa v92, v22, v2 dst_sel:DWORD dst_unused:UNUSED_PAD src0_sel:DWORD src1_sel:WORD_1
	;; [unrolled: 1-line block ×8, first 2 shown]
	v_fma_f16 v8, v8, v18, v33
	v_mul_f16_sdwa v33, v6, v19 dst_sel:DWORD dst_unused:UNUSED_PAD src0_sel:DWORD src1_sel:WORD_1
	v_mul_f16_sdwa v90, v44, v2 dst_sel:DWORD dst_unused:UNUSED_PAD src0_sel:DWORD src1_sel:WORD_1
	;; [unrolled: 1-line block ×6, first 2 shown]
	v_fma_f16 v44, v44, v2, v92
	v_fma_f16 v45, v45, v3, v94
	v_fma_f16 v27, v27, v4, -v95
	v_fma_f16 v46, v46, v4, v96
	v_fma_f16 v29, v29, v17, -v98
	v_fma_f16 v48, v48, v18, v101
	v_fma_f16 v74, v74, v19, v103
	v_fma_f16 v33, v34, v19, -v33
	v_mul_f16_sdwa v34, v34, v19 dst_sel:DWORD dst_unused:UNUSED_PAD src0_sel:DWORD src1_sel:WORD_1
	v_fma_f16 v15, v15, v1, v89
	v_fma_f16 v22, v22, v2, -v90
	v_fma_f16 v24, v24, v3, -v93
	v_fma_f16 v47, v47, v17, v99
	v_fma_f16 v31, v31, v18, -v100
	v_fma_f16 v35, v35, v19, -v102
	v_fma_f16 v6, v6, v19, v34
	v_sub_f16_e32 v27, v11, v27
	v_sub_f16_e32 v34, v13, v46
	;; [unrolled: 1-line block ×6, first 2 shown]
	v_fma_f16 v44, v44, 2.0, -v46
	v_sub_f16_e32 v47, v15, v47
	v_sub_f16_e32 v35, v24, v35
	v_fma_f16 v45, v45, 2.0, -v48
	v_sub_f16_e32 v46, v27, v46
	v_sub_f16_e32 v48, v29, v48
	v_fma_f16 v11, v11, 2.0, -v27
	v_fma_f16 v22, v22, 2.0, -v31
	;; [unrolled: 1-line block ×4, first 2 shown]
	v_add_f16_e32 v31, v34, v31
	v_fma_f16 v27, v27, 2.0, -v46
	v_add_f16_e32 v35, v47, v35
	v_fma_f16 v29, v29, 2.0, -v48
	v_fma_f16 v13, v13, 2.0, -v34
	v_fma_f16 v15, v15, 2.0, -v47
	v_fma_f16 v34, v34, 2.0, -v31
	v_fma_f16 v47, v47, 2.0, -v35
	v_fma_f16 v74, v29, s4, v27
	v_mul_f16_sdwa v105, v21, v1 dst_sel:DWORD dst_unused:UNUSED_PAD src0_sel:DWORD src1_sel:WORD_1
	v_mul_f16_sdwa v110, v83, v4 dst_sel:DWORD dst_unused:UNUSED_PAD src0_sel:DWORD src1_sel:WORD_1
	;; [unrolled: 1-line block ×4, first 2 shown]
	v_fma_f16 v89, v47, s4, v34
	v_fma_f16 v47, v47, s4, v74
	v_mul_f16_sdwa v104, v76, v1 dst_sel:DWORD dst_unused:UNUSED_PAD src0_sel:DWORD src1_sel:WORD_1
	v_mul_f16_sdwa v107, v23, v2 dst_sel:DWORD dst_unused:UNUSED_PAD src0_sel:DWORD src1_sel:WORD_1
	;; [unrolled: 1-line block ×6, first 2 shown]
	v_fma_f16 v76, v76, v1, v105
	v_fma_f16 v28, v28, v4, -v110
	v_fma_f16 v83, v83, v4, v111
	v_fma_f16 v84, v84, v17, v113
	v_sub_f16_e32 v22, v11, v22
	v_sub_f16_e32 v45, v15, v45
	v_fma_f16 v74, v29, s5, v89
	v_fma_f16 v89, v27, 2.0, -v47
	v_fma_f16 v27, v48, s5, v46
	v_mul_f16_sdwa v106, v80, v2 dst_sel:DWORD dst_unused:UNUSED_PAD src0_sel:DWORD src1_sel:WORD_1
	v_mul_f16_sdwa v108, v81, v3 dst_sel:DWORD dst_unused:UNUSED_PAD src0_sel:DWORD src1_sel:WORD_1
	;; [unrolled: 1-line block ×4, first 2 shown]
	v_fma_f16 v80, v80, v2, v107
	v_fma_f16 v81, v81, v3, v109
	;; [unrolled: 1-line block ×4, first 2 shown]
	v_sub_f16_e32 v44, v13, v44
	v_sub_f16_e32 v24, v20, v24
	v_fma_f16 v15, v15, 2.0, -v45
	v_sub_f16_e32 v90, v22, v45
	v_fma_f16 v29, v35, s5, v31
	v_fma_f16 v93, v35, s4, v27
	v_sub_f16_e32 v27, v12, v28
	v_sub_f16_e32 v28, v75, v83
	;; [unrolled: 1-line block ×3, first 2 shown]
	v_fma_f16 v20, v20, 2.0, -v24
	v_add_f16_e32 v24, v44, v24
	v_fma_f16 v48, v48, s5, v29
	v_fma_f16 v29, v75, 2.0, -v28
	v_sub_f16_e32 v35, v80, v85
	v_fma_f16 v75, v76, 2.0, -v45
	v_sub_f16_e32 v76, v81, v86
	v_fma_f16 v21, v21, v1, -v104
	v_fma_f16 v30, v30, v17, -v112
	v_fma_f16 v13, v13, 2.0, -v44
	v_fma_f16 v92, v44, 2.0, -v24
	;; [unrolled: 1-line block ×4, first 2 shown]
	v_fma_f16 v25, v25, v3, -v108
	v_fma_f16 v36, v36, v19, -v116
	v_sub_f16_e32 v30, v21, v30
	v_sub_f16_e32 v44, v29, v44
	;; [unrolled: 1-line block ×3, first 2 shown]
	v_fma_f16 v23, v23, v2, -v106
	v_fma_f16 v32, v32, v18, -v114
	v_sub_f16_e32 v36, v25, v36
	v_fma_f16 v29, v29, 2.0, -v44
	v_sub_f16_e32 v35, v27, v35
	v_fma_f16 v75, v75, 2.0, -v80
	;; [unrolled: 2-line block ×4, first 2 shown]
	v_fma_f16 v25, v25, 2.0, -v36
	v_fma_f16 v27, v27, 2.0, -v35
	v_add_f16_e32 v36, v45, v36
	v_fma_f16 v30, v30, 2.0, -v76
	v_sub_f16_e32 v75, v29, v75
	v_fma_f16 v23, v23, 2.0, -v32
	v_add_f16_e32 v32, v28, v32
	v_fma_f16 v45, v45, 2.0, -v36
	v_fma_f16 v84, v29, 2.0, -v75
	v_fma_f16 v29, v30, s4, v27
	v_mul_f16_sdwa v119, v16, v1 dst_sel:DWORD dst_unused:UNUSED_PAD src0_sel:DWORD src1_sel:WORD_1
	v_fma_f16 v28, v28, 2.0, -v32
	v_sub_f16_e32 v25, v21, v25
	v_fma_f16 v94, v45, s4, v29
	v_mul_f16_sdwa v118, v42, v1 dst_sel:DWORD dst_unused:UNUSED_PAD src0_sel:DWORD src1_sel:WORD_1
	v_mul_f16_sdwa v120, v87, v2 dst_sel:DWORD dst_unused:UNUSED_PAD src0_sel:DWORD src1_sel:WORD_1
	;; [unrolled: 1-line block ×3, first 2 shown]
	v_fma_f16 v42, v42, v1, v119
	v_fma_f16 v21, v21, 2.0, -v25
	v_fma_f16 v81, v45, s4, v28
	v_fma_f16 v96, v27, 2.0, -v94
	v_add_f16_e32 v100, v44, v25
	v_fma_f16 v25, v76, s5, v35
	v_fma_f16 v27, v36, s5, v32
	v_fma_f16 v16, v16, v1, -v118
	v_fma_f16 v7, v7, v2, -v120
	v_fma_f16 v87, v87, v2, v121
	v_fma_f16 v95, v30, s5, v81
	;; [unrolled: 1-line block ×4, first 2 shown]
	v_lshrrev_b32_e32 v27, 16, v5
	v_sub_f16_e32 v10, v42, v10
	v_sub_f16_e32 v6, v14, v6
	v_fma_f16 v98, v28, 2.0, -v95
	v_fma_f16 v102, v35, 2.0, -v36
	v_sub_f16_e32 v25, v5, v41
	v_sub_f16_e32 v28, v27, v37
	;; [unrolled: 1-line block ×5, first 2 shown]
	v_fma_f16 v37, v42, 2.0, -v10
	v_sub_f16_e32 v33, v88, v33
	v_fma_f16 v14, v14, 2.0, -v6
	v_sub_f16_e32 v23, v12, v23
	v_fma_f16 v5, v5, 2.0, -v25
	v_fma_f16 v7, v7, 2.0, -v29
	;; [unrolled: 1-line block ×5, first 2 shown]
	v_sub_f16_e32 v8, v25, v8
	v_sub_f16_e32 v14, v37, v14
	;; [unrolled: 1-line block ×3, first 2 shown]
	v_fma_f16 v27, v27, 2.0, -v28
	v_sub_f16_e32 v7, v5, v7
	v_add_f16_e32 v80, v28, v29
	v_fma_f16 v29, v25, 2.0, -v8
	v_sub_f16_e32 v38, v16, v38
	v_fma_f16 v25, v37, 2.0, -v14
	v_sub_f16_e32 v37, v35, v6
	v_sub_f16_e32 v30, v27, v30
	v_fma_f16 v5, v5, 2.0, -v7
	v_fma_f16 v16, v16, 2.0, -v38
	v_add_f16_e32 v33, v10, v33
	v_fma_f16 v6, v35, 2.0, -v37
	v_fma_f16 v41, v27, 2.0, -v30
	;; [unrolled: 1-line block ×4, first 2 shown]
	v_sub_f16_e32 v27, v5, v16
	v_fma_f16 v16, v6, s4, v29
	v_fma_f16 v35, v10, s4, v42
	;; [unrolled: 1-line block ×4, first 2 shown]
	v_fma_f16 v6, v29, 2.0, -v28
	v_sub_f16_e32 v29, v7, v14
	v_fma_f16 v11, v11, 2.0, -v22
	v_sub_f16_e32 v83, v41, v25
	v_add_f16_e32 v86, v30, v38
	v_fma_f16 v43, v7, 2.0, -v29
	v_fma_f16 v7, v37, s5, v8
	v_sub_f16_e32 v20, v11, v20
	v_sub_f16_e32 v15, v13, v15
	v_fma_f16 v101, v44, 2.0, -v100
	v_fma_f16 v25, v41, 2.0, -v83
	;; [unrolled: 1-line block ×3, first 2 shown]
	v_fma_f16 v10, v33, s5, v80
	v_fma_f16 v30, v33, s4, v7
	v_lshlrev_b32_e32 v41, 3, v0
	s_movk_i32 s4, 0xfe0
	v_fma_f16 v11, v11, 2.0, -v20
	v_fma_f16 v13, v13, 2.0, -v15
	;; [unrolled: 1-line block ×3, first 2 shown]
	v_fma_f16 v87, v37, s5, v10
	v_and_or_b32 v7, v41, s4, v73
	v_fma_f16 v22, v22, 2.0, -v90
	v_fma_f16 v46, v46, 2.0, -v93
	;; [unrolled: 1-line block ×6, first 2 shown]
	v_lshlrev_b32_e32 v80, 2, v7
	v_pack_b32_f16 v7, v11, v13
	v_pack_b32_f16 v8, v89, v34
	ds_write2_b32 v80, v7, v8 offset1:4
	v_pack_b32_f16 v7, v22, v92
	v_pack_b32_f16 v8, v46, v31
	ds_write2_b32 v80, v7, v8 offset0:8 offset1:12
	v_pack_b32_f16 v7, v20, v15
	v_pack_b32_f16 v8, v47, v74
	v_fma_f16 v12, v12, 2.0, -v23
	ds_write2_b32 v80, v7, v8 offset0:16 offset1:20
	v_pack_b32_f16 v7, v90, v24
	v_pack_b32_f16 v8, v93, v48
	v_sub_f16_e32 v21, v12, v21
	ds_write2_b32 v80, v7, v8 offset0:24 offset1:28
	v_lshlrev_b32_e32 v7, 3, v40
	s_movk_i32 s4, 0x1fe0
	v_fma_f16 v12, v12, 2.0, -v21
	v_and_or_b32 v7, v7, s4, v73
	v_fma_f16 v23, v23, 2.0, -v99
	v_fma_f16 v32, v32, 2.0, -v76
	v_lshlrev_b32_e32 v81, 2, v7
	v_pack_b32_f16 v7, v12, v84
	v_pack_b32_f16 v8, v96, v98
	ds_write2_b32 v81, v7, v8 offset1:4
	v_pack_b32_f16 v7, v23, v101
	v_pack_b32_f16 v8, v102, v32
	ds_write2_b32 v81, v7, v8 offset0:8 offset1:12
	v_pack_b32_f16 v7, v21, v75
	v_pack_b32_f16 v8, v94, v95
	ds_write2_b32 v81, v7, v8 offset0:16 offset1:20
	v_pack_b32_f16 v7, v99, v100
	v_pack_b32_f16 v8, v36, v76
	v_fma_f16 v5, v5, 2.0, -v27
	ds_write2_b32 v81, v7, v8 offset0:24 offset1:28
	v_lshlrev_b32_e32 v7, 3, v9
	buffer_store_dword v7, off, s[20:23], 0 offset:16 ; 4-byte Folded Spill
	s_and_saveexec_b64 s[4:5], s[2:3]
	s_cbranch_execz .LBB0_11
; %bb.10:
	buffer_load_dword v7, off, s[20:23], 0 offset:16 ; 4-byte Folded Reload
	s_movk_i32 s16, 0x2fe0
	s_waitcnt vmcnt(0)
	v_and_or_b32 v7, v7, s16, v73
	s_mov_b32 s16, 0x5040100
	v_lshlrev_b32_e32 v7, 2, v7
	v_perm_b32 v8, v25, v5, s16
	v_perm_b32 v9, v45, v6, s16
	ds_write2_b32 v7, v8, v9 offset1:4
	v_perm_b32 v8, v44, v43, s16
	v_perm_b32 v9, v35, v42, s16
	ds_write2_b32 v7, v8, v9 offset0:8 offset1:12
	v_perm_b32 v8, v83, v27, s16
	v_perm_b32 v9, v85, v28, s16
	ds_write2_b32 v7, v8, v9 offset0:16 offset1:20
	;; [unrolled: 3-line block ×3, first 2 shown]
.LBB0_11:
	s_or_b64 exec, exec, s[4:5]
	s_waitcnt vmcnt(0) lgkmcnt(0)
	s_barrier
	ds_read2st64_b32 v[9:10], v55 offset1:8
	ds_read2st64_b32 v[33:34], v55 offset0:36 offset1:44
	ds_read2st64_b32 v[31:32], v55 offset0:72 offset1:80
	;; [unrolled: 1-line block ×7, first 2 shown]
	s_and_saveexec_b64 s[4:5], s[0:1]
	s_cbranch_execz .LBB0_13
; %bb.12:
	ds_read2st64_b32 v[5:6], v55 offset0:32 offset1:68
	ds_read_b32 v43, v55 offset:26624
	ds_read_b32 v42, v55 offset:35840
	s_waitcnt lgkmcnt(2)
	v_lshrrev_b32_e32 v25, 16, v5
	v_lshrrev_b32_e32 v45, 16, v6
	s_waitcnt lgkmcnt(1)
	v_lshrrev_b32_e32 v44, 16, v43
	s_waitcnt lgkmcnt(0)
	v_lshrrev_b32_e32 v35, 16, v42
.LBB0_13:
	s_or_b64 exec, exec, s[4:5]
	v_and_b32_e32 v74, 31, v0
	v_mad_u64_u32 v[20:21], s[4:5], v74, 12, s[14:15]
	s_waitcnt lgkmcnt(6)
	v_lshrrev_b32_e32 v46, 16, v33
	s_waitcnt lgkmcnt(5)
	v_lshrrev_b32_e32 v47, 16, v31
	global_load_dwordx3 v[20:22], v[20:21], off offset:112
	s_waitcnt lgkmcnt(4)
	v_lshrrev_b32_e32 v48, 16, v23
	v_lshrrev_b32_e32 v75, 16, v34
	;; [unrolled: 1-line block ×4, first 2 shown]
	s_waitcnt lgkmcnt(2)
	v_lshrrev_b32_e32 v88, 16, v15
	s_waitcnt lgkmcnt(1)
	v_lshrrev_b32_e32 v89, 16, v13
	;; [unrolled: 2-line block ×3, first 2 shown]
	v_lshrrev_b32_e32 v92, 16, v16
	v_lshrrev_b32_e32 v93, 16, v14
	v_lshrrev_b32_e32 v94, 16, v12
	v_lshrrev_b32_e32 v37, 16, v7
	v_lshrrev_b32_e32 v40, 16, v9
	v_lshrrev_b32_e32 v38, 16, v10
	v_lshrrev_b32_e32 v36, 16, v8
	s_movk_i32 s4, 0x780
	s_waitcnt vmcnt(0)
	s_barrier
	v_mul_f16_sdwa v95, v46, v20 dst_sel:DWORD dst_unused:UNUSED_PAD src0_sel:DWORD src1_sel:WORD_1
	v_fma_f16 v95, v33, v20, -v95
	v_mul_f16_sdwa v33, v33, v20 dst_sel:DWORD dst_unused:UNUSED_PAD src0_sel:DWORD src1_sel:WORD_1
	v_fma_f16 v33, v46, v20, v33
	v_mul_f16_sdwa v46, v47, v21 dst_sel:DWORD dst_unused:UNUSED_PAD src0_sel:DWORD src1_sel:WORD_1
	v_fma_f16 v46, v31, v21, -v46
	v_mul_f16_sdwa v31, v31, v21 dst_sel:DWORD dst_unused:UNUSED_PAD src0_sel:DWORD src1_sel:WORD_1
	v_fma_f16 v31, v47, v21, v31
	;; [unrolled: 4-line block ×14, first 2 shown]
	v_mul_f16_sdwa v44, v35, v22 dst_sel:DWORD dst_unused:UNUSED_PAD src0_sel:DWORD src1_sel:WORD_1
	v_sub_f16_e32 v13, v37, v13
	v_sub_f16_e32 v11, v15, v11
	v_fma_f16 v44, v42, v22, -v44
	v_mul_f16_sdwa v42, v42, v22 dst_sel:DWORD dst_unused:UNUSED_PAD src0_sel:DWORD src1_sel:WORD_1
	v_fma_f16 v37, v37, 2.0, -v13
	v_fma_f16 v15, v15, 2.0, -v11
	v_fma_f16 v35, v35, v22, v42
	v_sub_f16_e32 v42, v9, v46
	v_sub_f16_e32 v46, v95, v47
	;; [unrolled: 1-line block ×5, first 2 shown]
	v_fma_f16 v47, v95, 2.0, -v46
	v_fma_f16 v95, v37, 2.0, -v15
	v_sub_f16_e32 v37, v8, v92
	v_sub_f16_e32 v12, v16, v12
	;; [unrolled: 1-line block ×4, first 2 shown]
	v_fma_f16 v9, v9, 2.0, -v42
	v_fma_f16 v40, v40, 2.0, -v31
	;; [unrolled: 1-line block ×3, first 2 shown]
	v_sub_f16_e32 v88, v7, v88
	v_fma_f16 v16, v16, 2.0, -v12
	v_sub_f16_e32 v12, v37, v12
	v_sub_f16_e32 v45, v5, v45
	v_fma_f16 v25, v25, 2.0, -v43
	v_sub_f16_e32 v44, v94, v44
	v_fma_f16 v6, v6, 2.0, -v35
	v_sub_f16_e32 v47, v9, v47
	v_sub_f16_e32 v33, v40, v33
	;; [unrolled: 1-line block ×3, first 2 shown]
	v_add_f16_e32 v46, v31, v46
	v_sub_f16_e32 v11, v88, v11
	v_fma_f16 v8, v8, 2.0, -v37
	v_fma_f16 v100, v37, 2.0, -v12
	v_fma_f16 v5, v5, 2.0, -v45
	v_fma_f16 v37, v94, 2.0, -v44
	v_sub_f16_e32 v106, v25, v6
	v_fma_f16 v9, v9, 2.0, -v47
	v_fma_f16 v40, v40, 2.0, -v33
	;; [unrolled: 1-line block ×4, first 2 shown]
	v_sub_f16_e32 v75, v10, v75
	v_sub_f16_e32 v32, v38, v32
	;; [unrolled: 1-line block ×4, first 2 shown]
	v_fma_f16 v7, v7, 2.0, -v88
	v_sub_f16_e32 v89, v84, v89
	v_fma_f16 v98, v88, 2.0, -v11
	v_sub_f16_e32 v14, v36, v14
	v_sub_f16_e32 v88, v90, v93
	;; [unrolled: 1-line block ×3, first 2 shown]
	v_fma_f16 v37, v25, 2.0, -v106
	v_and_or_b32 v25, v55, s4, v74
	v_fma_f16 v10, v10, 2.0, -v75
	v_fma_f16 v38, v38, 2.0, -v32
	;; [unrolled: 1-line block ×5, first 2 shown]
	v_add_f16_e32 v96, v13, v89
	v_fma_f16 v89, v90, 2.0, -v88
	v_add_f16_e32 v99, v14, v88
	v_lshlrev_b32_e32 v88, 2, v25
	v_pack_b32_f16 v9, v9, v40
	v_pack_b32_f16 v25, v42, v31
	v_sub_f16_e32 v48, v10, v48
	v_sub_f16_e32 v34, v38, v34
	;; [unrolled: 1-line block ×3, first 2 shown]
	v_add_f16_e32 v76, v32, v76
	ds_write2_b32 v88, v9, v25 offset1:32
	v_pack_b32_f16 v9, v47, v33
	v_pack_b32_f16 v23, v23, v46
	s_movk_i32 s4, 0xf80
	v_fma_f16 v10, v10, 2.0, -v48
	v_fma_f16 v38, v38, 2.0, -v34
	v_fma_f16 v75, v75, 2.0, -v24
	v_fma_f16 v32, v32, 2.0, -v76
	ds_write2_b32 v88, v9, v23 offset0:64 offset1:96
	v_and_or_b32 v9, v39, s4, v74
	v_sub_f16_e32 v93, v8, v89
	v_lshlrev_b32_e32 v89, 2, v9
	v_pack_b32_f16 v9, v10, v38
	v_pack_b32_f16 v10, v75, v32
	v_sub_f16_e32 v84, v7, v84
	ds_write2_b32 v89, v9, v10 offset1:32
	v_pack_b32_f16 v9, v48, v34
	v_pack_b32_f16 v10, v24, v76
	s_movk_i32 s4, 0x1780
	v_fma_f16 v7, v7, 2.0, -v84
	v_fma_f16 v13, v13, 2.0, -v96
	ds_write2_b32 v89, v9, v10 offset0:64 offset1:96
	v_and_or_b32 v9, v97, s4, v74
	v_fma_f16 v36, v36, 2.0, -v14
	v_lshlrev_b32_e32 v90, 2, v9
	v_pack_b32_f16 v7, v7, v95
	v_pack_b32_f16 v9, v98, v13
	v_sub_f16_e32 v16, v36, v16
	ds_write2_b32 v90, v7, v9 offset1:32
	v_pack_b32_f16 v7, v84, v15
	v_pack_b32_f16 v9, v11, v96
	s_movk_i32 s4, 0x1f80
	v_fma_f16 v8, v8, 2.0, -v93
	v_fma_f16 v36, v36, 2.0, -v16
	;; [unrolled: 1-line block ×3, first 2 shown]
	ds_write2_b32 v90, v7, v9 offset0:64 offset1:96
	v_and_or_b32 v7, v50, s4, v74
	v_sub_f16_e32 v104, v45, v35
	v_add_f16_e32 v107, v43, v44
	v_lshlrev_b32_e32 v92, 2, v7
	v_pack_b32_f16 v7, v8, v36
	v_pack_b32_f16 v8, v100, v14
	v_fma_f16 v5, v5, 2.0, -v103
	v_fma_f16 v6, v45, 2.0, -v104
	;; [unrolled: 1-line block ×3, first 2 shown]
	ds_write2_b32 v92, v7, v8 offset1:32
	v_pack_b32_f16 v7, v93, v16
	v_pack_b32_f16 v8, v12, v99
	ds_write2_b32 v92, v7, v8 offset0:64 offset1:96
	s_and_saveexec_b64 s[4:5], s[0:1]
	s_cbranch_execz .LBB0_15
; %bb.14:
	buffer_load_dword v7, off, s[20:23], 0  ; 4-byte Folded Reload
	s_movk_i32 s16, 0x2780
	s_waitcnt vmcnt(0)
	v_and_or_b32 v7, v7, s16, v74
	s_mov_b32 s16, 0x5040100
	v_lshlrev_b32_e32 v7, 2, v7
	v_perm_b32 v8, v37, v5, s16
	v_perm_b32 v9, v108, v6, s16
	ds_write2_b32 v7, v8, v9 offset1:32
	v_perm_b32 v8, v106, v103, s16
	v_perm_b32 v9, v107, v104, s16
	ds_write2_b32 v7, v8, v9 offset0:64 offset1:96
.LBB0_15:
	s_or_b64 exec, exec, s[4:5]
	s_waitcnt lgkmcnt(0)
	s_barrier
	ds_read2st64_b32 v[9:10], v55 offset1:8
	ds_read2st64_b32 v[35:36], v55 offset0:36 offset1:44
	ds_read2st64_b32 v[33:34], v55 offset0:72 offset1:80
	;; [unrolled: 1-line block ×7, first 2 shown]
	s_and_saveexec_b64 s[4:5], s[0:1]
	s_cbranch_execz .LBB0_17
; %bb.16:
	ds_read2st64_b32 v[5:6], v55 offset0:32 offset1:68
	ds_read_b32 v103, v55 offset:26624
	ds_read_b32 v104, v55 offset:35840
	s_waitcnt lgkmcnt(2)
	v_lshrrev_b32_e32 v37, 16, v5
	v_lshrrev_b32_e32 v108, 16, v6
	s_waitcnt lgkmcnt(1)
	v_lshrrev_b32_e32 v106, 16, v103
	s_waitcnt lgkmcnt(0)
	v_lshrrev_b32_e32 v107, 16, v104
.LBB0_17:
	s_or_b64 exec, exec, s[4:5]
	v_and_b32_e32 v84, 0x7f, v0
	v_mad_u64_u32 v[23:24], s[4:5], v84, 12, s[14:15]
	s_waitcnt lgkmcnt(6)
	v_lshrrev_b32_e32 v43, 16, v35
	s_waitcnt lgkmcnt(5)
	v_lshrrev_b32_e32 v44, 16, v33
	global_load_dwordx3 v[23:25], v[23:24], off offset:496
	s_waitcnt lgkmcnt(4)
	v_lshrrev_b32_e32 v45, 16, v31
	v_lshrrev_b32_e32 v48, 16, v36
	;; [unrolled: 1-line block ×4, first 2 shown]
	s_waitcnt lgkmcnt(2)
	v_lshrrev_b32_e32 v93, 16, v15
	s_waitcnt lgkmcnt(1)
	v_lshrrev_b32_e32 v94, 16, v13
	;; [unrolled: 2-line block ×3, first 2 shown]
	v_lshrrev_b32_e32 v109, 16, v16
	v_lshrrev_b32_e32 v110, 16, v14
	;; [unrolled: 1-line block ×7, first 2 shown]
	s_movk_i32 s4, 0x600
	s_waitcnt vmcnt(0)
	s_barrier
	s_movk_i32 s16, 0x4000
	v_mul_f16_sdwa v46, v43, v23 dst_sel:DWORD dst_unused:UNUSED_PAD src0_sel:DWORD src1_sel:WORD_1
	v_fma_f16 v46, v35, v23, -v46
	v_mul_f16_sdwa v35, v35, v23 dst_sel:DWORD dst_unused:UNUSED_PAD src0_sel:DWORD src1_sel:WORD_1
	v_fma_f16 v47, v43, v23, v35
	v_mul_f16_sdwa v35, v44, v24 dst_sel:DWORD dst_unused:UNUSED_PAD src0_sel:DWORD src1_sel:WORD_1
	v_fma_f16 v112, v33, v24, -v35
	v_mul_f16_sdwa v33, v33, v24 dst_sel:DWORD dst_unused:UNUSED_PAD src0_sel:DWORD src1_sel:WORD_1
	v_fma_f16 v113, v44, v24, v33
	;; [unrolled: 4-line block ×11, first 2 shown]
	v_mul_f16_sdwa v11, v111, v25 dst_sel:DWORD dst_unused:UNUSED_PAD src0_sel:DWORD src1_sel:WORD_1
	v_fma_f16 v43, v12, v25, -v11
	v_mul_f16_sdwa v11, v12, v25 dst_sel:DWORD dst_unused:UNUSED_PAD src0_sel:DWORD src1_sel:WORD_1
	v_mul_f16_sdwa v12, v106, v24 dst_sel:DWORD dst_unused:UNUSED_PAD src0_sel:DWORD src1_sel:WORD_1
	v_fma_f16 v12, v103, v24, -v12
	v_mul_f16_sdwa v14, v103, v24 dst_sel:DWORD dst_unused:UNUSED_PAD src0_sel:DWORD src1_sel:WORD_1
	v_sub_f16_e32 v103, v9, v112
	v_sub_f16_e32 v76, v46, v101
	v_fma_f16 v16, v106, v24, v14
	v_mul_f16_sdwa v14, v107, v25 dst_sel:DWORD dst_unused:UNUSED_PAD src0_sel:DWORD src1_sel:WORD_1
	v_fma_f16 v9, v9, 2.0, -v103
	v_fma_f16 v46, v46, 2.0, -v76
	v_fma_f16 v14, v104, v25, -v14
	v_mul_f16_sdwa v33, v104, v25 dst_sel:DWORD dst_unused:UNUSED_PAD src0_sel:DWORD src1_sel:WORD_1
	v_sub_f16_e32 v104, v105, v113
	v_sub_f16_e32 v46, v9, v46
	v_fma_f16 v75, v105, 2.0, -v104
	v_fma_f16 v105, v9, 2.0, -v46
	v_sub_f16_e32 v9, v10, v96
	v_sub_f16_e32 v96, v42, v99
	;; [unrolled: 1-line block ×3, first 2 shown]
	v_fma_f16 v45, v111, v25, v11
	v_mul_f16_sdwa v11, v108, v23 dst_sel:DWORD dst_unused:UNUSED_PAD src0_sel:DWORD src1_sel:WORD_1
	v_fma_f16 v36, v36, 2.0, -v99
	v_sub_f16_e32 v99, v9, v99
	v_fma_f16 v11, v6, v23, -v11
	v_mul_f16_sdwa v6, v6, v23 dst_sel:DWORD dst_unused:UNUSED_PAD src0_sel:DWORD src1_sel:WORD_1
	v_fma_f16 v10, v10, 2.0, -v9
	v_fma_f16 v100, v9, 2.0, -v99
	v_sub_f16_e32 v9, v7, v48
	v_sub_f16_e32 v48, v40, v94
	v_sub_f16_e32 v93, v31, v93
	v_sub_f16_e32 v94, v32, v95
	v_fma_f16 v6, v108, v23, v6
	v_fma_f16 v7, v7, 2.0, -v9
	v_fma_f16 v31, v31, 2.0, -v93
	v_sub_f16_e32 v108, v9, v94
	v_sub_f16_e32 v31, v7, v31
	v_fma_f16 v110, v9, 2.0, -v108
	v_sub_f16_e32 v9, v38, v44
	v_fma_f16 v33, v107, v25, v33
	v_fma_f16 v107, v7, 2.0, -v31
	v_sub_f16_e32 v7, v8, v34
	v_fma_f16 v34, v38, 2.0, -v9
	v_sub_f16_e32 v38, v13, v43
	v_fma_f16 v8, v8, 2.0, -v7
	v_sub_f16_e32 v43, v15, v45
	v_fma_f16 v13, v13, 2.0, -v38
	v_sub_f16_e32 v101, v47, v102
	v_fma_f16 v15, v15, 2.0, -v43
	v_sub_f16_e32 v13, v8, v13
	v_sub_f16_e32 v43, v7, v43
	v_fma_f16 v47, v47, 2.0, -v101
	v_fma_f16 v44, v8, 2.0, -v13
	v_add_f16_e32 v38, v9, v38
	v_fma_f16 v111, v7, 2.0, -v43
	v_sub_f16_e32 v7, v5, v12
	v_sub_f16_e32 v8, v37, v16
	;; [unrolled: 1-line block ×6, first 2 shown]
	v_add_f16_e32 v76, v104, v76
	v_fma_f16 v112, v9, 2.0, -v38
	v_fma_f16 v9, v37, 2.0, -v8
	v_fma_f16 v6, v6, 2.0, -v14
	v_fma_f16 v75, v75, 2.0, -v47
	v_fma_f16 v103, v103, 2.0, -v106
	v_fma_f16 v104, v104, 2.0, -v76
	v_sub_f16_e32 v98, v35, v98
	v_fma_f16 v5, v5, 2.0, -v7
	v_fma_f16 v11, v11, 2.0, -v12
	v_sub_f16_e32 v101, v9, v6
	v_and_or_b32 v6, v55, s4, v84
	v_fma_f16 v42, v42, 2.0, -v96
	v_fma_f16 v35, v35, 2.0, -v98
	v_add_f16_e32 v109, v48, v93
	v_sub_f16_e32 v33, v5, v11
	v_lshlrev_b32_e32 v93, 2, v6
	v_pack_b32_f16 v6, v105, v75
	v_pack_b32_f16 v11, v103, v104
	v_sub_f16_e32 v35, v10, v35
	v_sub_f16_e32 v36, v42, v36
	v_add_f16_e32 v98, v96, v98
	ds_write2st64_b32 v93, v6, v11 offset1:2
	v_pack_b32_f16 v6, v46, v47
	v_pack_b32_f16 v11, v106, v76
	s_movk_i32 s4, 0xe00
	v_fma_f16 v10, v10, 2.0, -v35
	v_fma_f16 v42, v42, 2.0, -v36
	v_fma_f16 v96, v96, 2.0, -v98
	ds_write2st64_b32 v93, v6, v11 offset0:4 offset1:6
	v_and_or_b32 v6, v39, s4, v84
	v_fma_f16 v40, v40, 2.0, -v48
	v_fma_f16 v32, v32, 2.0, -v94
	v_lshlrev_b32_e32 v94, 2, v6
	v_pack_b32_f16 v6, v10, v42
	v_pack_b32_f16 v10, v100, v96
	v_sub_f16_e32 v32, v40, v32
	ds_write2st64_b32 v94, v6, v10 offset1:2
	v_pack_b32_f16 v6, v35, v36
	v_pack_b32_f16 v10, v99, v98
	s_movk_i32 s4, 0x1600
	v_fma_f16 v40, v40, 2.0, -v32
	v_fma_f16 v48, v48, 2.0, -v109
	ds_write2st64_b32 v94, v6, v10 offset0:4 offset1:6
	v_and_or_b32 v6, v97, s4, v84
	v_lshlrev_b32_e32 v95, 2, v6
	v_pack_b32_f16 v6, v107, v40
	v_pack_b32_f16 v10, v110, v48
	v_sub_f16_e32 v15, v34, v15
	ds_write2st64_b32 v95, v6, v10 offset1:2
	v_pack_b32_f16 v6, v31, v32
	v_pack_b32_f16 v10, v108, v109
	s_movk_i32 s4, 0x1e00
	v_fma_f16 v45, v34, 2.0, -v15
	ds_write2st64_b32 v95, v6, v10 offset0:4 offset1:6
	v_and_or_b32 v6, v50, s4, v84
	v_lshlrev_b32_e32 v96, 2, v6
	v_pack_b32_f16 v6, v44, v45
	v_pack_b32_f16 v10, v111, v112
	v_sub_f16_e32 v34, v7, v14
	v_add_f16_e32 v102, v8, v12
	ds_write2st64_b32 v96, v6, v10 offset1:2
	v_pack_b32_f16 v6, v13, v15
	v_pack_b32_f16 v10, v43, v38
	ds_write2st64_b32 v96, v6, v10 offset0:4 offset1:6
	s_and_saveexec_b64 s[4:5], s[0:1]
	s_cbranch_execz .LBB0_19
; %bb.18:
	v_fma_f16 v6, v7, 2.0, -v34
	v_fma_f16 v7, v8, 2.0, -v102
	;; [unrolled: 1-line block ×3, first 2 shown]
	buffer_load_dword v9, off, s[20:23], 0  ; 4-byte Folded Reload
	s_movk_i32 s17, 0x2600
	v_fma_f16 v5, v5, 2.0, -v33
	v_pack_b32_f16 v5, v5, v8
	v_pack_b32_f16 v6, v6, v7
	s_waitcnt vmcnt(0)
	v_and_or_b32 v9, v9, s17, v84
	v_lshlrev_b32_e32 v9, 2, v9
	s_mov_b32 s17, 0x5040100
	ds_write2st64_b32 v9, v5, v6 offset1:2
	v_perm_b32 v5, v101, v33, s17
	v_perm_b32 v6, v102, v34, s17
	ds_write2st64_b32 v9, v5, v6 offset0:4 offset1:6
.LBB0_19:
	s_or_b64 exec, exec, s[4:5]
	v_add_co_u32_e32 v5, vcc, s14, v41
	v_mov_b32_e32 v6, s15
	v_addc_co_u32_e32 v6, vcc, 0, v6, vcc
	s_waitcnt lgkmcnt(0)
	s_barrier
	global_load_dwordx2 v[31:32], v[5:6], off offset:2032
	ds_read2st64_b32 v[9:10], v55 offset0:32 offset1:48
	ds_read2st64_b32 v[106:107], v55 offset0:96 offset1:104
	;; [unrolled: 1-line block ×5, first 2 shown]
	s_waitcnt lgkmcnt(4)
	v_lshrrev_b32_e32 v75, 16, v10
	s_waitcnt lgkmcnt(3)
	v_lshrrev_b32_e32 v76, 16, v106
	;; [unrolled: 2-line block ×3, first 2 shown]
	v_lshrrev_b32_e32 v109, 16, v107
	s_waitcnt lgkmcnt(1)
	v_lshrrev_b32_e32 v110, 16, v39
	ds_read2st64_b32 v[15:16], v55 offset0:120 offset1:136
	s_waitcnt lgkmcnt(1)
	v_lshrrev_b32_e32 v111, 16, v37
	ds_read2st64_b32 v[35:36], v55 offset0:80 offset1:88
	v_lshrrev_b32_e32 v105, 16, v40
	v_lshrrev_b32_e32 v99, 16, v38
	s_waitcnt lgkmcnt(1)
	v_lshrrev_b32_e32 v104, 16, v15
	ds_read2st64_b32 v[13:14], v55 offset1:8
	s_waitcnt lgkmcnt(1)
	v_lshrrev_b32_e32 v100, 16, v35
	v_lshrrev_b32_e32 v98, 16, v36
	;; [unrolled: 1-line block ×3, first 2 shown]
	s_movk_i32 s15, 0x3aee
	s_waitcnt lgkmcnt(0)
	v_lshrrev_b32_e32 v47, 16, v13
	s_mov_b32 s14, 0xbaee
	ds_read2st64_b32 v[11:12], v55 offset0:16 offset1:24
	v_lshrrev_b32_e32 v46, 16, v14
	v_lshrrev_b32_e32 v43, 16, v9
	;; [unrolled: 1-line block ×3, first 2 shown]
	s_waitcnt lgkmcnt(0)
	v_lshrrev_b32_e32 v45, 16, v11
	v_lshrrev_b32_e32 v44, 16, v12
	s_waitcnt vmcnt(0)
	s_barrier
	s_movk_i32 s17, 0x1000
	s_add_u32 s4, s6, 0x9000
	s_addc_u32 s5, s7, 0
	v_or_b32_e32 v103, 0x1a00, v0
	v_mul_f16_sdwa v41, v75, v31 dst_sel:DWORD dst_unused:UNUSED_PAD src0_sel:DWORD src1_sel:WORD_1
	v_fma_f16 v41, v10, v31, -v41
	v_mul_f16_sdwa v10, v10, v31 dst_sel:DWORD dst_unused:UNUSED_PAD src0_sel:DWORD src1_sel:WORD_1
	v_fma_f16 v10, v75, v31, v10
	v_mul_f16_sdwa v75, v76, v32 dst_sel:DWORD dst_unused:UNUSED_PAD src0_sel:DWORD src1_sel:WORD_1
	v_fma_f16 v75, v106, v32, -v75
	v_mul_f16_sdwa v106, v106, v32 dst_sel:DWORD dst_unused:UNUSED_PAD src0_sel:DWORD src1_sel:WORD_1
	v_fma_f16 v76, v76, v32, v106
	;; [unrolled: 4-line block ×11, first 2 shown]
	v_mul_f16_sdwa v98, v48, v32 dst_sel:DWORD dst_unused:UNUSED_PAD src0_sel:DWORD src1_sel:WORD_1
	v_fma_f16 v98, v16, v32, -v98
	v_mul_f16_sdwa v16, v16, v32 dst_sel:DWORD dst_unused:UNUSED_PAD src0_sel:DWORD src1_sel:WORD_1
	v_add_f16_e32 v112, v41, v75
	v_fma_f16 v16, v48, v32, v16
	v_add_f16_e32 v48, v13, v41
	v_fma_f16 v13, v112, -0.5, v13
	v_sub_f16_e32 v112, v10, v76
	v_fma_f16 v113, v112, s15, v13
	v_fma_f16 v13, v112, s14, v13
	v_add_f16_e32 v112, v47, v10
	v_add_f16_e32 v10, v10, v76
	v_add_f16_e32 v48, v48, v75
	v_fma_f16 v10, v10, -0.5, v47
	v_sub_f16_e32 v41, v41, v75
	v_add_f16_e32 v75, v106, v108
	v_fma_f16 v47, v41, s14, v10
	v_fma_f16 v10, v41, s15, v10
	v_add_f16_e32 v41, v14, v106
	v_fma_f16 v14, v75, -0.5, v14
	v_sub_f16_e32 v75, v8, v107
	v_add_f16_e32 v112, v112, v76
	v_fma_f16 v76, v75, s15, v14
	v_fma_f16 v14, v75, s14, v14
	v_add_f16_e32 v75, v46, v8
	v_add_f16_e32 v8, v8, v107
	v_add_f16_e32 v75, v75, v107
	v_fma_f16 v8, v8, -0.5, v46
	v_sub_f16_e32 v46, v106, v108
	v_add_f16_e32 v107, v109, v110
	v_fma_f16 v106, v46, s14, v8
	v_fma_f16 v8, v46, s15, v8
	v_add_f16_e32 v46, v11, v109
	v_fma_f16 v11, v107, -0.5, v11
	v_sub_f16_e32 v107, v39, v37
	v_add_f16_e32 v41, v41, v108
	;; [unrolled: 14-line block ×3, first 2 shown]
	v_fma_f16 v110, v109, s15, v12
	v_fma_f16 v12, v109, s14, v12
	v_add_f16_e32 v109, v44, v40
	v_add_f16_e32 v109, v109, v15
	;; [unrolled: 1-line block ×4, first 2 shown]
	v_fma_f16 v15, v15, -0.5, v44
	v_sub_f16_e32 v40, v111, v105
	v_add_f16_e32 v105, v104, v100
	v_fma_f16 v44, v40, s14, v15
	v_fma_f16 v15, v40, s15, v15
	v_add_f16_e32 v40, v9, v104
	v_fma_f16 v9, v105, -0.5, v9
	v_sub_f16_e32 v105, v35, v38
	v_fma_f16 v111, v105, s15, v9
	v_fma_f16 v9, v105, s14, v9
	v_add_f16_e32 v105, v43, v35
	v_add_f16_e32 v35, v35, v38
	;; [unrolled: 1-line block ×4, first 2 shown]
	v_fma_f16 v35, v35, -0.5, v43
	v_sub_f16_e32 v38, v104, v100
	v_add_f16_e32 v100, v99, v98
	v_pack_b32_f16 v10, v13, v10
	v_pack_b32_f16 v13, v41, v75
	v_fma_f16 v43, v38, s14, v35
	v_fma_f16 v35, v38, s15, v35
	v_add_f16_e32 v38, v7, v99
	v_fma_f16 v7, v100, -0.5, v7
	v_sub_f16_e32 v100, v36, v16
	ds_write2st64_b32 v55, v10, v13 offset0:16 offset1:24
	v_pack_b32_f16 v10, v76, v106
	v_pack_b32_f16 v13, v46, v107
	v_fma_f16 v104, v100, s15, v7
	v_fma_f16 v7, v100, s14, v7
	v_add_f16_e32 v100, v42, v36
	v_pack_b32_f16 v8, v14, v8
	ds_write2st64_b32 v55, v10, v13 offset0:32 offset1:48
	v_pack_b32_f16 v10, v108, v45
	v_add_f16_e32 v100, v100, v16
	v_add_f16_e32 v16, v36, v16
	ds_write2st64_b32 v55, v8, v10 offset0:40 offset1:56
	v_pack_b32_f16 v8, v11, v37
	v_pack_b32_f16 v10, v39, v109
	v_mad_u64_u32 v[75:76], s[18:19], v0, 12, v[5:6]
	v_fma_f16 v16, v16, -0.5, v42
	v_sub_f16_e32 v36, v99, v98
	ds_write2st64_b32 v55, v8, v10 offset0:64 offset1:72
	v_pack_b32_f16 v8, v110, v44
	v_pack_b32_f16 v10, v12, v15
	v_add_f16_e32 v38, v38, v98
	v_fma_f16 v42, v36, s14, v16
	v_fma_f16 v16, v36, s15, v16
	ds_write2st64_b32 v55, v8, v10 offset0:80 offset1:88
	v_pack_b32_f16 v8, v40, v105
	v_pack_b32_f16 v10, v111, v43
	ds_write2st64_b32 v55, v8, v10 offset0:96 offset1:104
	v_pack_b32_f16 v8, v9, v35
	v_pack_b32_f16 v9, v38, v100
	;; [unrolled: 1-line block ×4, first 2 shown]
	ds_write2st64_b32 v55, v9, v7 offset0:120 offset1:136
	v_add_co_u32_e32 v9, vcc, s17, v75
	v_pack_b32_f16 v36, v48, v112
	v_pack_b32_f16 v47, v113, v47
	ds_write2st64_b32 v55, v8, v10 offset0:112 offset1:128
	v_addc_co_u32_e32 v10, vcc, 0, v76, vcc
	ds_write2st64_b32 v55, v36, v47 offset1:8
	s_waitcnt lgkmcnt(0)
	s_barrier
	global_load_dwordx4 v[5:8], v[9:10], off offset:2032
	ds_read2st64_b32 v[35:36], v55 offset0:16 offset1:24
	ds_read2st64_b32 v[14:15], v55 offset0:32 offset1:48
	;; [unrolled: 1-line block ×5, first 2 shown]
	s_waitcnt lgkmcnt(4)
	v_lshrrev_b32_e32 v11, 16, v36
	s_waitcnt lgkmcnt(3)
	v_lshrrev_b32_e32 v12, 16, v15
	;; [unrolled: 2-line block ×5, first 2 shown]
	s_movk_i32 s17, 0x3000
	ds_read2st64_b32 v[47:48], v55 offset0:40 offset1:56
	ds_read2st64_b32 v[45:46], v55 offset0:80 offset1:88
	v_lshrrev_b32_e32 v115, 16, v14
	v_lshrrev_b32_e32 v120, 16, v99
	ds_read2st64_b32 v[43:44], v55 offset0:112 offset1:128
	s_waitcnt lgkmcnt(2)
	v_lshrrev_b32_e32 v116, 16, v48
	s_waitcnt lgkmcnt(1)
	v_lshrrev_b32_e32 v118, 16, v45
	v_lshrrev_b32_e32 v126, 16, v47
	;; [unrolled: 1-line block ×3, first 2 shown]
	s_waitcnt lgkmcnt(0)
	v_lshrrev_b32_e32 v13, 16, v44
	v_lshrrev_b32_e32 v124, 16, v46
	;; [unrolled: 1-line block ×3, first 2 shown]
	ds_read2st64_b32 v[37:38], v55 offset1:8
	v_lshrrev_b32_e32 v107, 16, v40
	v_lshrrev_b32_e32 v104, 16, v35
	s_waitcnt lgkmcnt(0)
	v_lshrrev_b32_e32 v106, 16, v37
	v_lshrrev_b32_e32 v105, 16, v38
	s_waitcnt vmcnt(0)
	v_mul_f16_sdwa v108, v11, v5 dst_sel:DWORD dst_unused:UNUSED_PAD src0_sel:DWORD src1_sel:WORD_1
	v_fma_f16 v108, v36, v5, -v108
	v_mul_f16_sdwa v36, v36, v5 dst_sel:DWORD dst_unused:UNUSED_PAD src0_sel:DWORD src1_sel:WORD_1
	v_fma_f16 v36, v11, v5, v36
	v_mul_f16_sdwa v11, v12, v6 dst_sel:DWORD dst_unused:UNUSED_PAD src0_sel:DWORD src1_sel:WORD_1
	v_fma_f16 v110, v15, v6, -v11
	v_mul_f16_sdwa v11, v15, v6 dst_sel:DWORD dst_unused:UNUSED_PAD src0_sel:DWORD src1_sel:WORD_1
	v_fma_f16 v111, v12, v6, v11
	;; [unrolled: 4-line block ×3, first 2 shown]
	v_mul_f16_sdwa v11, v113, v8 dst_sel:DWORD dst_unused:UNUSED_PAD src0_sel:DWORD src1_sel:WORD_1
	v_fma_f16 v112, v98, v8, -v11
	v_mul_f16_sdwa v11, v98, v8 dst_sel:DWORD dst_unused:UNUSED_PAD src0_sel:DWORD src1_sel:WORD_1
	global_load_dword v98, v[9:10], off offset:2048
	v_fma_f16 v113, v113, v8, v11
	s_waitcnt vmcnt(0)
	v_mul_f16_sdwa v9, v114, v98 dst_sel:DWORD dst_unused:UNUSED_PAD src0_sel:DWORD src1_sel:WORD_1
	v_fma_f16 v117, v39, v98, -v9
	v_mul_f16_sdwa v9, v39, v98 dst_sel:DWORD dst_unused:UNUSED_PAD src0_sel:DWORD src1_sel:WORD_1
	v_fma_f16 v119, v114, v98, v9
	v_add_co_u32_e32 v9, vcc, s17, v75
	v_addc_co_u32_e32 v10, vcc, 0, v76, vcc
	global_load_dwordx4 v[9:12], v[9:10], off offset:4080
	s_waitcnt vmcnt(0)
	v_mul_f16_sdwa v15, v115, v9 dst_sel:DWORD dst_unused:UNUSED_PAD src0_sel:DWORD src1_sel:WORD_1
	v_fma_f16 v114, v14, v9, -v15
	v_mul_f16_sdwa v14, v14, v9 dst_sel:DWORD dst_unused:UNUSED_PAD src0_sel:DWORD src1_sel:WORD_1
	v_fma_f16 v39, v115, v9, v14
	v_mul_f16_sdwa v14, v116, v10 dst_sel:DWORD dst_unused:UNUSED_PAD src0_sel:DWORD src1_sel:WORD_1
	v_fma_f16 v115, v48, v10, -v14
	v_mul_f16_sdwa v14, v48, v10 dst_sel:DWORD dst_unused:UNUSED_PAD src0_sel:DWORD src1_sel:WORD_1
	v_fma_f16 v116, v116, v10, v14
	;; [unrolled: 4-line block ×4, first 2 shown]
	v_add_co_u32_e32 v14, vcc, s16, v75
	v_addc_co_u32_e32 v15, vcc, 0, v76, vcc
	global_load_dword v99, v[14:15], off
	s_movk_i32 s16, 0x6000
	v_add_co_u32_e32 v75, vcc, s16, v75
	v_addc_co_u32_e32 v76, vcc, 0, v76, vcc
	s_waitcnt vmcnt(0)
	v_mul_f16_sdwa v14, v13, v99 dst_sel:DWORD dst_unused:UNUSED_PAD src0_sel:DWORD src1_sel:WORD_1
	v_fma_f16 v123, v44, v99, -v14
	v_mul_f16_sdwa v14, v44, v99 dst_sel:DWORD dst_unused:UNUSED_PAD src0_sel:DWORD src1_sel:WORD_1
	v_fma_f16 v125, v13, v99, v14
	global_load_dwordx4 v[13:16], v[75:76], off offset:2032
	s_waitcnt vmcnt(0)
	v_mul_f16_sdwa v44, v126, v13 dst_sel:DWORD dst_unused:UNUSED_PAD src0_sel:DWORD src1_sel:WORD_1
	v_fma_f16 v121, v47, v13, -v44
	v_mul_f16_sdwa v44, v47, v13 dst_sel:DWORD dst_unused:UNUSED_PAD src0_sel:DWORD src1_sel:WORD_1
	v_mul_f16_sdwa v47, v122, v14 dst_sel:DWORD dst_unused:UNUSED_PAD src0_sel:DWORD src1_sel:WORD_1
	v_fma_f16 v47, v41, v14, -v47
	v_mul_f16_sdwa v41, v41, v14 dst_sel:DWORD dst_unused:UNUSED_PAD src0_sel:DWORD src1_sel:WORD_1
	v_fma_f16 v122, v122, v14, v41
	v_mul_f16_sdwa v41, v124, v15 dst_sel:DWORD dst_unused:UNUSED_PAD src0_sel:DWORD src1_sel:WORD_1
	v_fma_f16 v41, v46, v15, -v41
	v_mul_f16_sdwa v46, v46, v15 dst_sel:DWORD dst_unused:UNUSED_PAD src0_sel:DWORD src1_sel:WORD_1
	v_fma_f16 v46, v124, v15, v46
	;; [unrolled: 4-line block ×3, first 2 shown]
	global_load_dword v100, v[75:76], off offset:2048
	v_add_f16_e32 v76, v37, v110
	v_fma_f16 v44, v126, v13, v44
	v_add_f16_e32 v76, v76, v112
	s_waitcnt vmcnt(0)
	v_mul_f16_sdwa v75, v107, v100 dst_sel:DWORD dst_unused:UNUSED_PAD src0_sel:DWORD src1_sel:WORD_1
	v_fma_f16 v75, v40, v100, -v75
	v_mul_f16_sdwa v40, v40, v100 dst_sel:DWORD dst_unused:UNUSED_PAD src0_sel:DWORD src1_sel:WORD_1
	v_fma_f16 v40, v107, v100, v40
	v_add_f16_e32 v107, v110, v112
	v_fma_f16 v37, v107, -0.5, v37
	v_sub_f16_e32 v107, v111, v113
	v_fma_f16 v126, v107, s15, v37
	v_fma_f16 v37, v107, s14, v37
	v_add_f16_e32 v107, v106, v111
	v_add_f16_e32 v111, v111, v113
	v_fma_f16 v106, v111, -0.5, v106
	v_sub_f16_e32 v110, v110, v112
	v_add_f16_e32 v112, v109, v117
	v_fma_f16 v111, v110, s14, v106
	v_fma_f16 v106, v110, s15, v106
	v_add_f16_e32 v110, v108, v109
	v_fma_f16 v108, v112, -0.5, v108
	v_sub_f16_e32 v112, v42, v119
	v_add_f16_e32 v107, v107, v113
	v_fma_f16 v113, v112, s15, v108
	v_fma_f16 v108, v112, s14, v108
	v_add_f16_e32 v112, v36, v42
	v_add_f16_e32 v42, v42, v119
	v_fma_f16 v36, v42, -0.5, v36
	v_sub_f16_e32 v42, v109, v117
	v_fma_f16 v109, v42, s14, v36
	v_add_f16_e32 v110, v110, v117
	v_mul_f16_e32 v117, 0x3aee, v109
	v_fma_f16 v36, v42, s15, v36
	v_fma_f16 v117, v113, 0.5, v117
	v_mul_f16_e32 v127, -0.5, v108
	v_mul_f16_e32 v113, 0xbaee, v113
	v_fma_f16 v127, v36, s15, v127
	v_fma_f16 v109, v109, 0.5, v113
	v_mul_f16_e32 v36, -0.5, v36
	v_add_f16_e32 v113, v111, v109
	v_fma_f16 v36, v108, s14, v36
	v_sub_f16_e32 v109, v111, v109
	v_add_f16_e32 v111, v115, v118
	v_add_f16_e32 v112, v112, v119
	;; [unrolled: 1-line block ×3, first 2 shown]
	v_sub_f16_e32 v106, v106, v36
	v_add_f16_e32 v36, v38, v115
	v_fma_f16 v38, v111, -0.5, v38
	v_sub_f16_e32 v111, v116, v120
	v_add_f16_e32 v82, v107, v112
	v_sub_f16_e32 v107, v107, v112
	v_fma_f16 v112, v111, s15, v38
	v_fma_f16 v38, v111, s14, v38
	v_add_f16_e32 v111, v105, v116
	v_add_f16_e32 v116, v116, v120
	;; [unrolled: 1-line block ×4, first 2 shown]
	v_sub_f16_e32 v76, v76, v110
	v_sub_f16_e32 v110, v126, v117
	v_fma_f16 v105, v116, -0.5, v105
	v_sub_f16_e32 v115, v115, v118
	v_add_f16_e32 v117, v48, v123
	v_fma_f16 v116, v115, s14, v105
	v_fma_f16 v105, v115, s15, v105
	v_add_f16_e32 v115, v114, v48
	v_fma_f16 v114, v117, -0.5, v114
	v_sub_f16_e32 v117, v45, v125
	v_add_f16_e32 v36, v36, v118
	v_fma_f16 v118, v117, s15, v114
	v_fma_f16 v114, v117, s14, v114
	v_add_f16_e32 v117, v39, v45
	v_add_f16_e32 v45, v45, v125
	v_fma_f16 v39, v45, -0.5, v39
	v_sub_f16_e32 v45, v48, v123
	v_add_f16_e32 v117, v117, v125
	v_fma_f16 v48, v45, s14, v39
	v_fma_f16 v39, v45, s15, v39
	v_mul_f16_e32 v125, -0.5, v114
	v_fma_f16 v125, v39, s15, v125
	v_mul_f16_e32 v39, -0.5, v39
	v_add_f16_e32 v111, v111, v120
	v_mul_f16_e32 v120, 0x3aee, v48
	v_fma_f16 v39, v114, s14, v39
	v_add_f16_e32 v115, v115, v123
	v_fma_f16 v120, v118, 0.5, v120
	v_mul_f16_e32 v118, 0xbaee, v118
	v_add_f16_e32 v114, v105, v39
	v_sub_f16_e32 v39, v105, v39
	v_add_f16_e32 v105, v47, v124
	v_add_f16_e32 v45, v36, v115
	v_fma_f16 v48, v48, 0.5, v118
	v_sub_f16_e32 v115, v36, v115
	v_add_f16_e32 v36, v35, v47
	v_fma_f16 v35, v105, -0.5, v35
	v_sub_f16_e32 v105, v122, v43
	v_add_f16_e32 v118, v116, v48
	v_sub_f16_e32 v48, v116, v48
	v_fma_f16 v116, v105, s15, v35
	v_fma_f16 v105, v105, s14, v35
	v_add_f16_e32 v35, v104, v122
	v_add_f16_e32 v57, v37, v127
	v_sub_f16_e32 v37, v37, v127
	v_add_f16_e32 v127, v111, v117
	v_sub_f16_e32 v111, v111, v117
	v_add_f16_e32 v117, v35, v43
	v_add_f16_e32 v35, v122, v43
	v_fma_f16 v35, v35, -0.5, v104
	v_add_f16_e32 v104, v41, v75
	v_add_f16_e32 v123, v112, v120
	v_sub_f16_e32 v112, v112, v120
	v_sub_f16_e32 v43, v47, v124
	v_fma_f16 v104, v104, -0.5, v121
	v_sub_f16_e32 v120, v46, v40
	v_fma_f16 v47, v43, s14, v35
	v_fma_f16 v43, v43, s15, v35
	v_add_f16_e32 v35, v121, v41
	v_fma_f16 v121, v120, s15, v104
	v_fma_f16 v104, v120, s14, v104
	v_add_f16_e32 v120, v44, v46
	v_add_f16_e32 v120, v120, v40
	;; [unrolled: 1-line block ×3, first 2 shown]
	v_fma_f16 v40, v40, -0.5, v44
	v_sub_f16_e32 v41, v41, v75
	v_fma_f16 v44, v41, s14, v40
	v_fma_f16 v40, v41, s15, v40
	v_mul_f16_e32 v122, -0.5, v104
	v_mul_f16_e32 v46, 0x3aee, v44
	v_fma_f16 v122, v40, s15, v122
	v_mul_f16_e32 v40, -0.5, v40
	v_add_f16_e32 v36, v36, v124
	v_add_f16_e32 v35, v35, v75
	v_fma_f16 v46, v121, 0.5, v46
	v_mul_f16_e32 v121, 0xbaee, v121
	v_fma_f16 v40, v104, s14, v40
	v_add_f16_e32 v126, v38, v125
	v_sub_f16_e32 v38, v38, v125
	v_add_f16_e32 v41, v36, v35
	v_add_f16_e32 v125, v117, v120
	v_fma_f16 v44, v44, 0.5, v121
	v_add_f16_e32 v77, v43, v40
	v_sub_f16_e32 v104, v43, v40
	v_pack_b32_f16 v40, v42, v82
	v_pack_b32_f16 v45, v45, v127
	v_add_f16_e32 v75, v116, v46
	v_add_f16_e32 v121, v47, v44
	v_pack_b32_f16 v42, v119, v113
	v_pack_b32_f16 v43, v57, v108
	ds_write2st64_b32 v55, v40, v45 offset1:8
	v_pack_b32_f16 v40, v123, v118
	v_pack_b32_f16 v38, v38, v39
	;; [unrolled: 1-line block ×3, first 2 shown]
	v_add_f16_e32 v124, v105, v122
	ds_write2st64_b32 v55, v40, v43 offset0:32 offset1:48
	v_pack_b32_f16 v40, v126, v114
	ds_write2st64_b32 v55, v39, v42 offset0:16 offset1:24
	v_pack_b32_f16 v39, v75, v121
	v_sub_f16_e32 v78, v36, v35
	v_sub_f16_e32 v35, v116, v46
	;; [unrolled: 1-line block ×5, first 2 shown]
	v_pack_b32_f16 v44, v76, v107
	ds_write2st64_b32 v55, v39, v40 offset0:40 offset1:56
	v_pack_b32_f16 v39, v124, v77
	v_pack_b32_f16 v43, v115, v111
	ds_write2st64_b32 v55, v39, v44 offset0:64 offset1:72
	v_pack_b32_f16 v39, v78, v46
	ds_write2st64_b32 v55, v43, v39 offset0:80 offset1:88
	v_pack_b32_f16 v39, v35, v105
	v_pack_b32_f16 v47, v110, v109
	;; [unrolled: 1-line block ×4, first 2 shown]
	ds_write2st64_b32 v55, v39, v38 offset0:112 offset1:128
	v_pack_b32_f16 v38, v36, v104
	ds_write2st64_b32 v55, v47, v45 offset0:96 offset1:104
	ds_write2st64_b32 v55, v37, v38 offset0:120 offset1:136
	s_waitcnt lgkmcnt(0)
	s_barrier
	global_load_dword v42, v55, s[4:5]
	global_load_dword v48, v91, s[4:5]
	v_add_co_u32_e32 v40, vcc, s4, v55
	v_mov_b32_e32 v41, s5
	v_addc_co_u32_e32 v41, vcc, 0, v41, vcc
	s_movk_i32 s14, 0x2000
	v_add_co_u32_e32 v44, vcc, s14, v40
	v_addc_co_u32_e32 v45, vcc, 0, v41, vcc
	global_load_dword v46, v[44:45], off offset:1024
	ds_read2st64_b32 v[37:38], v55 offset1:8
	v_add_co_u32_e32 v106, vcc, s16, v40
	v_addc_co_u32_e32 v107, vcc, 0, v41, vcc
	s_waitcnt lgkmcnt(0)
	v_lshrrev_b32_e32 v39, 16, v37
	ds_read2st64_b32 v[75:76], v55 offset0:108 offset1:116
	s_movk_i32 s14, 0x7000
	v_lshlrev_b32_e32 v91, 2, v103
	s_waitcnt vmcnt(2)
	v_mul_f16_sdwa v43, v39, v42 dst_sel:DWORD dst_unused:UNUSED_PAD src0_sel:DWORD src1_sel:WORD_1
	v_fma_f16 v43, v37, v42, -v43
	v_mul_f16_sdwa v37, v37, v42 dst_sel:DWORD dst_unused:UNUSED_PAD src0_sel:DWORD src1_sel:WORD_1
	v_fma_f16 v37, v39, v42, v37
	v_pack_b32_f16 v37, v43, v37
	ds_read2st64_b32 v[42:43], v55 offset0:36 offset1:44
	s_waitcnt lgkmcnt(0)
	v_lshrrev_b32_e32 v39, 16, v42
	s_waitcnt vmcnt(0)
	v_mul_f16_sdwa v47, v39, v46 dst_sel:DWORD dst_unused:UNUSED_PAD src0_sel:DWORD src1_sel:WORD_1
	v_fma_f16 v47, v42, v46, -v47
	v_mul_f16_sdwa v42, v42, v46 dst_sel:DWORD dst_unused:UNUSED_PAD src0_sel:DWORD src1_sel:WORD_1
	v_fma_f16 v39, v39, v46, v42
	v_pack_b32_f16 v39, v47, v39
	ds_read2st64_b32 v[46:47], v55 offset0:72 offset1:80
	s_waitcnt lgkmcnt(0)
	v_lshrrev_b32_e32 v42, 16, v46
	v_mul_f16_sdwa v57, v42, v48 dst_sel:DWORD dst_unused:UNUSED_PAD src0_sel:DWORD src1_sel:WORD_1
	v_fma_f16 v57, v46, v48, -v57
	v_mul_f16_sdwa v46, v46, v48 dst_sel:DWORD dst_unused:UNUSED_PAD src0_sel:DWORD src1_sel:WORD_1
	v_fma_f16 v42, v42, v48, v46
	global_load_dword v48, v[106:107], off offset:3072
	v_lshrrev_b32_e32 v46, 16, v75
	v_pack_b32_f16 v42, v57, v42
	s_waitcnt vmcnt(0)
	v_mul_f16_sdwa v57, v46, v48 dst_sel:DWORD dst_unused:UNUSED_PAD src0_sel:DWORD src1_sel:WORD_1
	v_fma_f16 v57, v75, v48, -v57
	v_mul_f16_sdwa v75, v75, v48 dst_sel:DWORD dst_unused:UNUSED_PAD src0_sel:DWORD src1_sel:WORD_1
	v_fma_f16 v46, v46, v48, v75
	v_pack_b32_f16 v46, v57, v46
	global_load_dword v57, v55, s[4:5] offset:2048
	v_lshrrev_b32_e32 v48, 16, v38
	s_waitcnt vmcnt(0)
	v_mul_f16_sdwa v75, v48, v57 dst_sel:DWORD dst_unused:UNUSED_PAD src0_sel:DWORD src1_sel:WORD_1
	v_fma_f16 v75, v38, v57, -v75
	v_mul_f16_sdwa v38, v38, v57 dst_sel:DWORD dst_unused:UNUSED_PAD src0_sel:DWORD src1_sel:WORD_1
	v_fma_f16 v38, v48, v57, v38
	v_pack_b32_f16 v38, v75, v38
	ds_write2st64_b32 v55, v37, v38 offset1:8
	global_load_dword v38, v[44:45], off offset:3072
	v_lshrrev_b32_e32 v37, 16, v43
	global_load_dword v48, v51, s[4:5]
	s_waitcnt vmcnt(1)
	v_mul_f16_sdwa v44, v37, v38 dst_sel:DWORD dst_unused:UNUSED_PAD src0_sel:DWORD src1_sel:WORD_1
	v_fma_f16 v44, v43, v38, -v44
	v_mul_f16_sdwa v43, v43, v38 dst_sel:DWORD dst_unused:UNUSED_PAD src0_sel:DWORD src1_sel:WORD_1
	v_fma_f16 v37, v37, v38, v43
	global_load_dword v38, v52, s[4:5]
	v_pack_b32_f16 v37, v44, v37
	ds_write2st64_b32 v55, v39, v37 offset0:36 offset1:44
	v_lshrrev_b32_e32 v37, 16, v47
	s_waitcnt vmcnt(0)
	v_mul_f16_sdwa v39, v37, v38 dst_sel:DWORD dst_unused:UNUSED_PAD src0_sel:DWORD src1_sel:WORD_1
	v_mul_f16_sdwa v43, v47, v38 dst_sel:DWORD dst_unused:UNUSED_PAD src0_sel:DWORD src1_sel:WORD_1
	v_fma_f16 v39, v47, v38, -v39
	v_fma_f16 v37, v37, v38, v43
	v_pack_b32_f16 v37, v39, v37
	ds_write2st64_b32 v55, v42, v37 offset0:72 offset1:80
	v_add_co_u32_e32 v42, vcc, s14, v40
	v_addc_co_u32_e32 v43, vcc, 0, v41, vcc
	global_load_dword v38, v[42:43], off offset:1024
	v_lshrrev_b32_e32 v37, 16, v76
	v_add_co_u32_e32 v75, vcc, s17, v40
	global_load_dword v42, v[42:43], off offset:3072
	s_waitcnt vmcnt(1)
	v_mul_f16_sdwa v39, v37, v38 dst_sel:DWORD dst_unused:UNUSED_PAD src0_sel:DWORD src1_sel:WORD_1
	v_mul_f16_sdwa v44, v76, v38 dst_sel:DWORD dst_unused:UNUSED_PAD src0_sel:DWORD src1_sel:WORD_1
	v_fma_f16 v39, v76, v38, -v39
	v_fma_f16 v37, v37, v38, v44
	global_load_dword v38, v97, s[4:5]
	ds_read2st64_b32 v[44:45], v55 offset0:16 offset1:24
	v_pack_b32_f16 v37, v39, v37
	ds_write2st64_b32 v55, v46, v37 offset0:108 offset1:116
	v_addc_co_u32_e32 v76, vcc, 0, v41, vcc
	s_waitcnt lgkmcnt(1)
	v_lshrrev_b32_e32 v37, 16, v44
	ds_read2st64_b32 v[46:47], v55 offset0:52 offset1:60
	s_waitcnt vmcnt(0)
	v_mul_f16_sdwa v39, v37, v38 dst_sel:DWORD dst_unused:UNUSED_PAD src0_sel:DWORD src1_sel:WORD_1
	v_fma_f16 v39, v44, v38, -v39
	v_mul_f16_sdwa v44, v44, v38 dst_sel:DWORD dst_unused:UNUSED_PAD src0_sel:DWORD src1_sel:WORD_1
	v_fma_f16 v37, v37, v38, v44
	global_load_dword v38, v[75:76], off offset:1024
	v_pack_b32_f16 v44, v39, v37
	s_waitcnt lgkmcnt(0)
	v_lshrrev_b32_e32 v37, 16, v46
	s_waitcnt vmcnt(0)
	v_mul_f16_sdwa v39, v37, v38 dst_sel:DWORD dst_unused:UNUSED_PAD src0_sel:DWORD src1_sel:WORD_1
	v_fma_f16 v39, v46, v38, -v39
	v_mul_f16_sdwa v46, v46, v38 dst_sel:DWORD dst_unused:UNUSED_PAD src0_sel:DWORD src1_sel:WORD_1
	v_fma_f16 v37, v37, v38, v46
	v_pack_b32_f16 v46, v39, v37
	ds_read2st64_b32 v[38:39], v55 offset0:88 offset1:96
	s_waitcnt lgkmcnt(0)
	v_lshrrev_b32_e32 v37, 16, v38
	v_mul_f16_sdwa v51, v37, v48 dst_sel:DWORD dst_unused:UNUSED_PAD src0_sel:DWORD src1_sel:WORD_1
	v_fma_f16 v51, v38, v48, -v51
	v_mul_f16_sdwa v38, v38, v48 dst_sel:DWORD dst_unused:UNUSED_PAD src0_sel:DWORD src1_sel:WORD_1
	v_fma_f16 v37, v37, v48, v38
	v_pack_b32_f16 v48, v51, v37
	ds_read2st64_b32 v[37:38], v55 offset0:124 offset1:132
	s_waitcnt lgkmcnt(0)
	v_lshrrev_b32_e32 v51, 16, v37
	v_mul_f16_sdwa v43, v51, v42 dst_sel:DWORD dst_unused:UNUSED_PAD src0_sel:DWORD src1_sel:WORD_1
	v_fma_f16 v43, v37, v42, -v43
	v_mul_f16_sdwa v37, v37, v42 dst_sel:DWORD dst_unused:UNUSED_PAD src0_sel:DWORD src1_sel:WORD_1
	v_fma_f16 v37, v51, v42, v37
	v_pack_b32_f16 v37, v43, v37
	global_load_dword v43, v50, s[4:5]
	v_lshrrev_b32_e32 v42, 16, v45
	s_waitcnt vmcnt(0)
	v_mul_f16_sdwa v50, v42, v43 dst_sel:DWORD dst_unused:UNUSED_PAD src0_sel:DWORD src1_sel:WORD_1
	v_fma_f16 v50, v45, v43, -v50
	v_mul_f16_sdwa v45, v45, v43 dst_sel:DWORD dst_unused:UNUSED_PAD src0_sel:DWORD src1_sel:WORD_1
	v_fma_f16 v42, v42, v43, v45
	global_load_dword v43, v[75:76], off offset:3072
	v_pack_b32_f16 v42, v50, v42
	ds_write2st64_b32 v55, v44, v42 offset0:16 offset1:24
	v_lshrrev_b32_e32 v42, 16, v47
	s_waitcnt vmcnt(0)
	v_mul_f16_sdwa v44, v42, v43 dst_sel:DWORD dst_unused:UNUSED_PAD src0_sel:DWORD src1_sel:WORD_1
	v_mul_f16_sdwa v45, v47, v43 dst_sel:DWORD dst_unused:UNUSED_PAD src0_sel:DWORD src1_sel:WORD_1
	v_fma_f16 v44, v47, v43, -v44
	v_fma_f16 v42, v42, v43, v45
	global_load_dword v43, v49, s[4:5]
	v_pack_b32_f16 v42, v44, v42
	ds_write2st64_b32 v55, v46, v42 offset0:52 offset1:60
	v_lshrrev_b32_e32 v42, 16, v39
	s_waitcnt vmcnt(0)
	v_mul_f16_sdwa v44, v42, v43 dst_sel:DWORD dst_unused:UNUSED_PAD src0_sel:DWORD src1_sel:WORD_1
	v_fma_f16 v44, v39, v43, -v44
	v_mul_f16_sdwa v39, v39, v43 dst_sel:DWORD dst_unused:UNUSED_PAD src0_sel:DWORD src1_sel:WORD_1
	v_fma_f16 v39, v42, v43, v39
	v_add_co_u32_e32 v42, vcc, 0x8000, v40
	v_addc_co_u32_e32 v43, vcc, 0, v41, vcc
	global_load_dword v42, v[42:43], off offset:1024
	v_pack_b32_f16 v39, v44, v39
	ds_write2st64_b32 v55, v48, v39 offset0:88 offset1:96
	v_lshrrev_b32_e32 v39, 16, v38
	s_waitcnt vmcnt(0)
	v_mul_f16_sdwa v43, v39, v42 dst_sel:DWORD dst_unused:UNUSED_PAD src0_sel:DWORD src1_sel:WORD_1
	v_fma_f16 v43, v38, v42, -v43
	v_mul_f16_sdwa v38, v38, v42 dst_sel:DWORD dst_unused:UNUSED_PAD src0_sel:DWORD src1_sel:WORD_1
	v_fma_f16 v38, v39, v42, v38
	v_pack_b32_f16 v38, v43, v38
	ds_write2st64_b32 v55, v37, v38 offset0:124 offset1:132
	s_and_saveexec_b64 s[14:15], s[0:1]
	s_cbranch_execz .LBB0_21
; %bb.20:
	buffer_load_dword v37, off, s[20:23], 0 ; 4-byte Folded Reload
	s_waitcnt vmcnt(0)
	global_load_dword v42, v37, s[4:5]
	global_load_dword v43, v91, s[4:5]
	v_add_co_u32_e32 v37, vcc, 0x4000, v40
	v_addc_co_u32_e32 v38, vcc, 0, v41, vcc
	global_load_dword v44, v[37:38], off offset:1024
	v_add_co_u32_e32 v37, vcc, 0x8000, v40
	v_addc_co_u32_e32 v38, vcc, 0, v41, vcc
	global_load_dword v41, v[37:38], off offset:3072
	ds_read2st64_b32 v[37:38], v55 offset0:32 offset1:68
	ds_read2st64_b32 v[39:40], v55 offset0:104 offset1:140
	s_waitcnt lgkmcnt(1)
	v_lshrrev_b32_e32 v45, 16, v37
	s_waitcnt lgkmcnt(0)
	v_lshrrev_b32_e32 v47, 16, v39
	v_lshrrev_b32_e32 v46, 16, v38
	;; [unrolled: 1-line block ×3, first 2 shown]
	s_waitcnt vmcnt(3)
	v_mul_f16_sdwa v49, v45, v42 dst_sel:DWORD dst_unused:UNUSED_PAD src0_sel:DWORD src1_sel:WORD_1
	v_mul_f16_sdwa v50, v37, v42 dst_sel:DWORD dst_unused:UNUSED_PAD src0_sel:DWORD src1_sel:WORD_1
	s_waitcnt vmcnt(2)
	v_mul_f16_sdwa v51, v47, v43 dst_sel:DWORD dst_unused:UNUSED_PAD src0_sel:DWORD src1_sel:WORD_1
	v_mul_f16_sdwa v52, v39, v43 dst_sel:DWORD dst_unused:UNUSED_PAD src0_sel:DWORD src1_sel:WORD_1
	v_fma_f16 v37, v37, v42, -v49
	v_fma_f16 v42, v45, v42, v50
	v_fma_f16 v39, v39, v43, -v51
	v_fma_f16 v43, v47, v43, v52
	v_pack_b32_f16 v37, v37, v42
	s_waitcnt vmcnt(1)
	v_mul_f16_sdwa v42, v46, v44 dst_sel:DWORD dst_unused:UNUSED_PAD src0_sel:DWORD src1_sel:WORD_1
	v_mul_f16_sdwa v45, v38, v44 dst_sel:DWORD dst_unused:UNUSED_PAD src0_sel:DWORD src1_sel:WORD_1
	v_pack_b32_f16 v39, v39, v43
	v_fma_f16 v38, v38, v44, -v42
	v_fma_f16 v42, v46, v44, v45
	s_waitcnt vmcnt(0)
	v_mul_f16_sdwa v43, v48, v41 dst_sel:DWORD dst_unused:UNUSED_PAD src0_sel:DWORD src1_sel:WORD_1
	v_mul_f16_sdwa v44, v40, v41 dst_sel:DWORD dst_unused:UNUSED_PAD src0_sel:DWORD src1_sel:WORD_1
	v_pack_b32_f16 v38, v38, v42
	v_fma_f16 v40, v40, v41, -v43
	v_fma_f16 v41, v48, v41, v44
	ds_write2st64_b32 v55, v37, v38 offset0:32 offset1:68
	v_pack_b32_f16 v37, v40, v41
	ds_write2st64_b32 v55, v39, v37 offset0:104 offset1:140
.LBB0_21:
	s_or_b64 exec, exec, s[14:15]
	s_waitcnt lgkmcnt(0)
	s_barrier
	ds_read2st64_b32 v[43:44], v55 offset1:8
	ds_read2st64_b32 v[45:46], v55 offset0:36 offset1:44
	ds_read2st64_b32 v[49:50], v55 offset0:72 offset1:80
	;; [unrolled: 1-line block ×7, first 2 shown]
	s_and_saveexec_b64 s[4:5], s[0:1]
	s_cbranch_execz .LBB0_23
; %bb.22:
	ds_read2st64_b32 v[35:36], v55 offset0:32 offset1:68
	ds_read2st64_b32 v[33:34], v55 offset0:104 offset1:140
	s_waitcnt lgkmcnt(1)
	v_lshrrev_b32_e32 v105, 16, v35
	v_lshrrev_b32_e32 v104, 16, v36
	s_waitcnt lgkmcnt(0)
	v_lshrrev_b32_e32 v101, 16, v33
	v_lshrrev_b32_e32 v102, 16, v34
.LBB0_23:
	s_or_b64 exec, exec, s[4:5]
	s_waitcnt lgkmcnt(5)
	v_pk_add_f16 v78, v44, v50 neg_lo:[0,1] neg_hi:[0,1]
	s_waitcnt lgkmcnt(1)
	v_pk_add_f16 v109, v39, v37 neg_lo:[0,1] neg_hi:[0,1]
	v_pk_add_f16 v52, v46, v52 neg_lo:[0,1] neg_hi:[0,1]
	v_lshrrev_b32_e32 v50, 16, v78
	s_waitcnt lgkmcnt(0)
	v_pk_add_f16 v110, v41, v47 neg_lo:[0,1] neg_hi:[0,1]
	v_lshrrev_b32_e32 v37, 16, v109
	v_sub_f16_e32 v106, v50, v52
	v_sub_f16_e32 v112, v37, v110
	v_pk_add_f16 v115, v40, v38 neg_lo:[0,1] neg_hi:[0,1]
	v_pk_add_f16 v116, v42, v48 neg_lo:[0,1] neg_hi:[0,1]
	v_sub_f16_e32 v47, v35, v33
	v_sub_f16_e32 v48, v105, v101
	;; [unrolled: 1-line block ×3, first 2 shown]
	v_pk_add_f16 v49, v43, v49 neg_lo:[0,1] neg_hi:[0,1]
	v_fma_f16 v108, v50, 2.0, -v106
	v_fma_f16 v114, v37, 2.0, -v112
	v_lshrrev_b32_e32 v37, 16, v115
	v_fma_f16 v33, v35, 2.0, -v47
	v_fma_f16 v35, v105, 2.0, -v48
	v_sub_f16_e32 v34, v36, v34
	v_fma_f16 v50, v104, 2.0, -v38
	v_pk_add_f16 v51, v45, v51 neg_lo:[0,1] neg_hi:[0,1]
	v_lshrrev_b32_e32 v75, 16, v49
	v_sub_f16_e32 v118, v37, v116
	v_fma_f16 v36, v36, 2.0, -v34
	v_sub_f16_e32 v101, v35, v50
	v_add_f16_sdwa v57, v49, v51 dst_sel:DWORD dst_unused:UNUSED_PAD src0_sel:DWORD src1_sel:WORD_1
	v_sub_f16_e32 v76, v75, v51
	v_fma_f16 v120, v37, 2.0, -v118
	v_sub_f16_e32 v37, v33, v36
	v_fma_f16 v97, v35, 2.0, -v101
	v_pk_fma_f16 v35, v43, 2.0, v49 op_sel_hi:[1,0,1] neg_lo:[0,0,1] neg_hi:[0,0,1]
	v_pk_fma_f16 v36, v45, 2.0, v51 op_sel_hi:[1,0,1] neg_lo:[0,0,1] neg_hi:[0,0,1]
	v_fma_f16 v77, v49, 2.0, -v57
	v_fma_f16 v75, v75, 2.0, -v76
	v_add_f16_e32 v38, v38, v47
	v_sub_f16_e32 v102, v48, v34
	v_pk_add_f16 v49, v35, v36 neg_lo:[0,1] neg_hi:[0,1]
	v_fma_f16 v34, v47, 2.0, -v38
	v_fma_f16 v103, v48, 2.0, -v102
	v_pk_fma_f16 v47, v35, 2.0, v49 op_sel_hi:[1,0,1] neg_lo:[0,0,1] neg_hi:[0,0,1]
	v_pack_b32_f16 v50, v57, v76
	v_pack_b32_f16 v48, v77, v75
	v_lshlrev_b32_e32 v35, 4, v0
	s_barrier
	ds_write_b128 v35, v[47:50]
	v_pk_fma_f16 v35, v44, 2.0, v78 op_sel_hi:[1,0,1] neg_lo:[0,0,1] neg_hi:[0,0,1]
	v_pk_fma_f16 v36, v46, 2.0, v52 op_sel_hi:[1,0,1] neg_lo:[0,0,1] neg_hi:[0,0,1]
	v_pk_add_f16 v45, v35, v36 neg_lo:[0,1] neg_hi:[0,1]
	v_pk_fma_f16 v43, v35, 2.0, v45 op_sel_hi:[1,0,1] neg_lo:[0,0,1] neg_hi:[0,0,1]
	buffer_load_dword v35, off, s[20:23], 0 offset:8 ; 4-byte Folded Reload
	v_add_f16_sdwa v82, v78, v52 dst_sel:DWORD dst_unused:UNUSED_PAD src0_sel:DWORD src1_sel:WORD_1
	v_fma_f16 v107, v78, 2.0, -v82
	v_pack_b32_f16 v46, v82, v106
	v_pack_b32_f16 v44, v107, v108
	v_pk_fma_f16 v36, v41, 2.0, v110 op_sel_hi:[1,0,1] neg_lo:[0,0,1] neg_hi:[0,0,1]
	v_add_f16_sdwa v111, v109, v110 dst_sel:DWORD dst_unused:UNUSED_PAD src0_sel:DWORD src1_sel:WORD_1
	v_fma_f16 v113, v109, 2.0, -v111
	v_add_f16_sdwa v117, v115, v116 dst_sel:DWORD dst_unused:UNUSED_PAD src0_sel:DWORD src1_sel:WORD_1
	v_fma_f16 v119, v115, 2.0, -v117
	v_fma_f16 v33, v33, 2.0, -v37
	s_waitcnt vmcnt(0)
	ds_write_b128 v35, v[43:46]
	v_pk_fma_f16 v35, v39, 2.0, v109 op_sel_hi:[1,0,1] neg_lo:[0,0,1] neg_hi:[0,0,1]
	v_pk_add_f16 v45, v35, v36 neg_lo:[0,1] neg_hi:[0,1]
	v_pk_fma_f16 v43, v35, 2.0, v45 op_sel_hi:[1,0,1] neg_lo:[0,0,1] neg_hi:[0,0,1]
	buffer_load_dword v35, off, s[20:23], 0 offset:12 ; 4-byte Folded Reload
	v_pack_b32_f16 v46, v111, v112
	v_pack_b32_f16 v44, v113, v114
	v_pk_fma_f16 v36, v42, 2.0, v116 op_sel_hi:[1,0,1] neg_lo:[0,0,1] neg_hi:[0,0,1]
	v_pack_b32_f16 v42, v117, v118
	s_waitcnt vmcnt(0)
	ds_write_b128 v35, v[43:46]
	v_pk_fma_f16 v35, v40, 2.0, v115 op_sel_hi:[1,0,1] neg_lo:[0,0,1] neg_hi:[0,0,1]
	v_pk_add_f16 v41, v35, v36 neg_lo:[0,1] neg_hi:[0,1]
	v_pk_fma_f16 v39, v35, 2.0, v41 op_sel_hi:[1,0,1] neg_lo:[0,0,1] neg_hi:[0,0,1]
	v_pack_b32_f16 v40, v119, v120
	ds_write_b128 v79, v[39:42]
	s_and_saveexec_b64 s[4:5], s[0:1]
	s_cbranch_execz .LBB0_25
; %bb.24:
	buffer_load_dword v35, off, s[20:23], 0 offset:4 ; 4-byte Folded Reload
	s_mov_b32 s14, 0x5040100
	v_perm_b32 v42, v102, v38, s14
	v_perm_b32 v41, v101, v37, s14
	;; [unrolled: 1-line block ×4, first 2 shown]
	s_waitcnt vmcnt(0)
	ds_write_b128 v35, v[39:42]
.LBB0_25:
	s_or_b64 exec, exec, s[4:5]
	s_waitcnt lgkmcnt(0)
	s_barrier
	ds_read2st64_b32 v[35:36], v55 offset1:8
	ds_read2st64_b32 v[51:52], v55 offset0:18 offset1:26
	ds_read2st64_b32 v[49:50], v55 offset0:36 offset1:44
	;; [unrolled: 1-line block ×7, first 2 shown]
	s_and_saveexec_b64 s[4:5], s[2:3]
	s_cbranch_execz .LBB0_27
; %bb.26:
	ds_read2st64_b32 v[33:34], v55 offset0:16 offset1:34
	ds_read2st64_b32 v[37:38], v55 offset0:52 offset1:70
	;; [unrolled: 1-line block ×4, first 2 shown]
	s_waitcnt lgkmcnt(3)
	v_lshrrev_b32_e32 v97, 16, v33
	v_lshrrev_b32_e32 v103, 16, v34
	s_waitcnt lgkmcnt(2)
	v_lshrrev_b32_e32 v101, 16, v37
	v_lshrrev_b32_e32 v102, 16, v38
	;; [unrolled: 3-line block ×4, first 2 shown]
.LBB0_27:
	s_or_b64 exec, exec, s[4:5]
	s_waitcnt lgkmcnt(6)
	v_lshrrev_b32_e32 v75, 16, v51
	v_mul_f16_sdwa v113, v1, v75 dst_sel:DWORD dst_unused:UNUSED_PAD src0_sel:WORD_1 src1_sel:DWORD
	s_waitcnt lgkmcnt(5)
	v_lshrrev_b32_e32 v76, 16, v49
	v_fma_f16 v113, v1, v51, v113
	v_mul_f16_sdwa v51, v1, v51 dst_sel:DWORD dst_unused:UNUSED_PAD src0_sel:WORD_1 src1_sel:DWORD
	v_fma_f16 v51, v1, v75, -v51
	v_mul_f16_sdwa v75, v2, v76 dst_sel:DWORD dst_unused:UNUSED_PAD src0_sel:WORD_1 src1_sel:DWORD
	s_waitcnt lgkmcnt(4)
	v_lshrrev_b32_e32 v77, 16, v47
	v_fma_f16 v75, v2, v49, v75
	v_mul_f16_sdwa v49, v2, v49 dst_sel:DWORD dst_unused:UNUSED_PAD src0_sel:WORD_1 src1_sel:DWORD
	v_fma_f16 v49, v2, v76, -v49
	;; [unrolled: 6-line block ×6, first 2 shown]
	v_mul_f16_sdwa v82, v19, v104 dst_sel:DWORD dst_unused:UNUSED_PAD src0_sel:WORD_1 src1_sel:DWORD
	v_lshrrev_b32_e32 v106, 16, v52
	v_fma_f16 v82, v19, v39, v82
	v_mul_f16_sdwa v39, v19, v39 dst_sel:DWORD dst_unused:UNUSED_PAD src0_sel:WORD_1 src1_sel:DWORD
	v_fma_f16 v39, v19, v104, -v39
	v_mul_f16_sdwa v104, v1, v106 dst_sel:DWORD dst_unused:UNUSED_PAD src0_sel:WORD_1 src1_sel:DWORD
	v_lshrrev_b32_e32 v107, 16, v50
	v_fma_f16 v104, v1, v52, v104
	v_mul_f16_sdwa v52, v1, v52 dst_sel:DWORD dst_unused:UNUSED_PAD src0_sel:WORD_1 src1_sel:DWORD
	v_fma_f16 v52, v1, v106, -v52
	v_mul_f16_sdwa v106, v2, v107 dst_sel:DWORD dst_unused:UNUSED_PAD src0_sel:WORD_1 src1_sel:DWORD
	v_lshrrev_b32_e32 v108, 16, v48
	v_fma_f16 v106, v2, v50, v106
	v_mul_f16_sdwa v50, v2, v50 dst_sel:DWORD dst_unused:UNUSED_PAD src0_sel:WORD_1 src1_sel:DWORD
	v_fma_f16 v50, v2, v107, -v50
	v_mul_f16_sdwa v107, v3, v108 dst_sel:DWORD dst_unused:UNUSED_PAD src0_sel:WORD_1 src1_sel:DWORD
	v_lshrrev_b32_e32 v109, 16, v46
	v_fma_f16 v107, v3, v48, v107
	v_mul_f16_sdwa v48, v3, v48 dst_sel:DWORD dst_unused:UNUSED_PAD src0_sel:WORD_1 src1_sel:DWORD
	v_fma_f16 v48, v3, v108, -v48
	v_mul_f16_sdwa v108, v4, v109 dst_sel:DWORD dst_unused:UNUSED_PAD src0_sel:WORD_1 src1_sel:DWORD
	v_lshrrev_b32_e32 v110, 16, v44
	v_fma_f16 v108, v4, v46, v108
	v_mul_f16_sdwa v46, v4, v46 dst_sel:DWORD dst_unused:UNUSED_PAD src0_sel:WORD_1 src1_sel:DWORD
	v_fma_f16 v46, v4, v109, -v46
	v_mul_f16_sdwa v109, v17, v110 dst_sel:DWORD dst_unused:UNUSED_PAD src0_sel:WORD_1 src1_sel:DWORD
	v_lshrrev_b32_e32 v111, 16, v42
	v_fma_f16 v109, v17, v44, v109
	v_mul_f16_sdwa v44, v17, v44 dst_sel:DWORD dst_unused:UNUSED_PAD src0_sel:WORD_1 src1_sel:DWORD
	v_fma_f16 v44, v17, v110, -v44
	v_mul_f16_sdwa v110, v18, v111 dst_sel:DWORD dst_unused:UNUSED_PAD src0_sel:WORD_1 src1_sel:DWORD
	v_lshrrev_b32_e32 v112, 16, v40
	v_fma_f16 v110, v18, v42, v110
	v_mul_f16_sdwa v42, v18, v42 dst_sel:DWORD dst_unused:UNUSED_PAD src0_sel:WORD_1 src1_sel:DWORD
	v_fma_f16 v42, v18, v111, -v42
	v_mul_f16_sdwa v111, v19, v112 dst_sel:DWORD dst_unused:UNUSED_PAD src0_sel:WORD_1 src1_sel:DWORD
	v_fma_f16 v111, v19, v40, v111
	v_mul_f16_sdwa v40, v19, v40 dst_sel:DWORD dst_unused:UNUSED_PAD src0_sel:WORD_1 src1_sel:DWORD
	v_fma_f16 v40, v19, v112, -v40
	v_mul_f16_sdwa v112, v1, v103 dst_sel:DWORD dst_unused:UNUSED_PAD src0_sel:WORD_1 src1_sel:DWORD
	v_fma_f16 v112, v1, v34, v112
	v_mul_f16_sdwa v34, v1, v34 dst_sel:DWORD dst_unused:UNUSED_PAD src0_sel:WORD_1 src1_sel:DWORD
	v_fma_f16 v1, v1, v103, -v34
	;; [unrolled: 4-line block ×7, first 2 shown]
	v_mul_f16_sdwa v29, v19, v87 dst_sel:DWORD dst_unused:UNUSED_PAD src0_sel:WORD_1 src1_sel:DWORD
	v_fma_f16 v29, v19, v30, v29
	v_mul_f16_sdwa v30, v19, v30 dst_sel:DWORD dst_unused:UNUSED_PAD src0_sel:WORD_1 src1_sel:DWORD
	v_lshrrev_b32_e32 v57, 16, v35
	v_fma_f16 v19, v19, v87, -v30
	v_sub_f16_e32 v30, v35, v77
	v_sub_f16_e32 v41, v49, v41
	;; [unrolled: 1-line block ×6, first 2 shown]
	v_fma_f16 v49, v49, 2.0, -v41
	v_sub_f16_e32 v43, v51, v43
	v_sub_f16_e32 v82, v76, v82
	v_fma_f16 v47, v47, 2.0, -v39
	v_add_f16_e32 v41, v30, v41
	v_add_f16_e32 v39, v78, v39
	v_fma_f16 v35, v35, 2.0, -v30
	v_fma_f16 v75, v75, 2.0, -v77
	;; [unrolled: 1-line block ×4, first 2 shown]
	v_sub_f16_e32 v77, v45, v77
	v_fma_f16 v30, v30, 2.0, -v41
	v_sub_f16_e32 v82, v43, v82
	v_fma_f16 v78, v78, 2.0, -v39
	s_mov_b32 s4, 0xb9a8
	v_fma_f16 v57, v57, 2.0, -v45
	v_fma_f16 v51, v51, 2.0, -v43
	;; [unrolled: 1-line block ×4, first 2 shown]
	v_fma_f16 v83, v78, s4, v30
	s_movk_i32 s5, 0x39a8
	v_lshrrev_b32_e32 v105, 16, v36
	v_fma_f16 v85, v43, s4, v45
	v_fma_f16 v83, v43, s5, v83
	;; [unrolled: 1-line block ×4, first 2 shown]
	v_fma_f16 v85, v30, 2.0, -v83
	v_fma_f16 v30, v39, s5, v41
	v_fma_f16 v39, v39, s4, v43
	v_sub_f16_e32 v43, v105, v46
	v_sub_f16_e32 v42, v50, v42
	v_sub_f16_e32 v44, v52, v44
	v_sub_f16_e32 v40, v48, v40
	v_fma_f16 v86, v45, 2.0, -v78
	v_fma_f16 v45, v105, 2.0, -v43
	;; [unrolled: 1-line block ×5, first 2 shown]
	v_fma_f16 v82, v82, s5, v30
	v_sub_f16_e32 v30, v36, v108
	v_sub_f16_e32 v101, v104, v109
	;; [unrolled: 1-line block ×6, first 2 shown]
	v_fma_f16 v45, v45, 2.0, -v50
	v_add_f16_e32 v42, v30, v42
	v_fma_f16 v52, v52, 2.0, -v48
	v_add_f16_e32 v40, v101, v40
	v_fma_f16 v36, v36, 2.0, -v30
	v_fma_f16 v87, v106, 2.0, -v46
	v_fma_f16 v102, v104, 2.0, -v101
	v_fma_f16 v104, v107, 2.0, -v103
	v_sub_f16_e32 v46, v43, v46
	v_fma_f16 v30, v30, 2.0, -v42
	v_sub_f16_e32 v103, v44, v103
	v_fma_f16 v101, v101, 2.0, -v40
	;; [unrolled: 2-line block ×3, first 2 shown]
	v_fma_f16 v44, v44, 2.0, -v103
	v_fma_f16 v105, v45, 2.0, -v52
	v_fma_f16 v45, v101, s4, v30
	v_fma_f16 v106, v44, s4, v43
	;; [unrolled: 1-line block ×4, first 2 shown]
	v_fma_f16 v106, v30, 2.0, -v107
	v_fma_f16 v30, v40, s5, v42
	v_fma_f16 v108, v43, 2.0, -v101
	v_fma_f16 v43, v103, s5, v46
	v_fma_f16 v103, v103, s5, v30
	v_sub_f16_e32 v30, v33, v38
	v_sub_f16_e32 v4, v97, v4
	;; [unrolled: 1-line block ×6, first 2 shown]
	v_fma_f16 v40, v40, s4, v43
	v_fma_f16 v33, v33, 2.0, -v30
	v_fma_f16 v38, v97, 2.0, -v4
	;; [unrolled: 1-line block ×4, first 2 shown]
	v_sub_f16_e32 v17, v1, v17
	v_fma_f16 v43, v112, 2.0, -v27
	v_sub_f16_e32 v19, v3, v19
	v_fma_f16 v37, v37, 2.0, -v29
	v_fma_f16 v1, v1, 2.0, -v17
	;; [unrolled: 1-line block ×3, first 2 shown]
	v_sub_f16_e32 v34, v33, v34
	v_sub_f16_e32 v44, v38, v2
	;; [unrolled: 1-line block ×7, first 2 shown]
	v_fma_f16 v2, v33, 2.0, -v34
	v_fma_f16 v33, v38, 2.0, -v44
	v_add_f16_e32 v38, v18, v30
	v_sub_f16_e32 v3, v1, v3
	v_fma_f16 v18, v43, 2.0, -v37
	v_add_f16_e32 v97, v19, v27
	v_sub_f16_e32 v109, v17, v29
	v_fma_f16 v35, v35, 2.0, -v75
	v_fma_f16 v57, v57, 2.0, -v49
	;; [unrolled: 1-line block ×4, first 2 shown]
	v_sub_f16_e32 v45, v4, v28
	v_fma_f16 v30, v30, 2.0, -v38
	v_fma_f16 v1, v1, 2.0, -v3
	;; [unrolled: 1-line block ×4, first 2 shown]
	v_sub_f16_e32 v17, v2, v18
	v_sub_f16_e32 v79, v35, v79
	;; [unrolled: 1-line block ×3, first 2 shown]
	v_fma_f16 v4, v4, 2.0, -v45
	v_sub_f16_e32 v18, v33, v1
	v_fma_f16 v1, v2, 2.0, -v17
	v_fma_f16 v2, v28, s4, v30
	v_fma_f16 v35, v35, 2.0, -v79
	v_fma_f16 v57, v57, 2.0, -v51
	v_add_f16_e32 v47, v75, v47
	v_sub_f16_e32 v76, v49, v76
	v_fma_f16 v29, v27, s4, v4
	v_fma_f16 v27, v27, s5, v2
	v_fma_f16 v75, v75, 2.0, -v47
	v_fma_f16 v49, v49, 2.0, -v76
	;; [unrolled: 1-line block ×4, first 2 shown]
	v_sub_f16_e32 v87, v36, v87
	v_sub_f16_e32 v104, v102, v104
	v_fma_f16 v2, v30, 2.0, -v27
	v_sub_f16_e32 v30, v44, v37
	v_pack_b32_f16 v35, v35, v57
	v_pack_b32_f16 v37, v85, v86
	v_fma_f16 v36, v36, 2.0, -v87
	v_fma_f16 v102, v102, 2.0, -v104
	s_barrier
	ds_write2_b32 v80, v35, v37 offset1:4
	v_pack_b32_f16 v35, v75, v49
	v_pack_b32_f16 v37, v41, v77
	v_sub_f16_e32 v102, v36, v102
	ds_write2_b32 v80, v35, v37 offset0:8 offset1:12
	v_pack_b32_f16 v35, v79, v51
	v_pack_b32_f16 v37, v83, v78
	v_fma_f16 v36, v36, 2.0, -v102
	v_add_f16_e32 v48, v87, v48
	v_sub_f16_e32 v104, v50, v104
	ds_write2_b32 v80, v35, v37 offset0:16 offset1:20
	v_pack_b32_f16 v35, v47, v76
	v_pack_b32_f16 v37, v82, v39
	v_fma_f16 v87, v87, 2.0, -v48
	v_fma_f16 v50, v50, 2.0, -v104
	;; [unrolled: 1-line block ×4, first 2 shown]
	v_fma_f16 v28, v28, s4, v29
	v_add_f16_e32 v29, v34, v3
	ds_write2_b32 v80, v35, v37 offset0:24 offset1:28
	v_pack_b32_f16 v35, v36, v105
	v_pack_b32_f16 v36, v106, v108
	v_fma_f16 v43, v4, 2.0, -v28
	v_fma_f16 v3, v34, 2.0, -v29
	v_fma_f16 v4, v97, s5, v38
	v_fma_f16 v34, v109, s5, v45
	ds_write2_b32 v81, v35, v36 offset1:4
	v_pack_b32_f16 v35, v87, v50
	v_pack_b32_f16 v36, v42, v46
	v_fma_f16 v19, v33, 2.0, -v18
	v_fma_f16 v33, v109, s5, v4
	v_fma_f16 v34, v97, s4, v34
	ds_write2_b32 v81, v35, v36 offset0:8 offset1:12
	v_pack_b32_f16 v35, v102, v52
	v_pack_b32_f16 v36, v107, v101
	v_fma_f16 v44, v44, 2.0, -v30
	v_fma_f16 v4, v38, 2.0, -v33
	;; [unrolled: 1-line block ×3, first 2 shown]
	ds_write2_b32 v81, v35, v36 offset0:16 offset1:20
	v_pack_b32_f16 v35, v48, v104
	v_pack_b32_f16 v36, v103, v40
	ds_write2_b32 v81, v35, v36 offset0:24 offset1:28
	s_and_saveexec_b64 s[4:5], s[2:3]
	s_cbranch_execz .LBB0_29
; %bb.28:
	buffer_load_dword v35, off, s[20:23], 0 offset:16 ; 4-byte Folded Reload
	s_movk_i32 s2, 0x2fe0
	s_waitcnt vmcnt(0)
	v_and_or_b32 v35, v35, s2, v73
	s_mov_b32 s2, 0x5040100
	v_lshlrev_b32_e32 v35, 2, v35
	v_perm_b32 v36, v19, v1, s2
	v_perm_b32 v37, v43, v2, s2
	;; [unrolled: 1-line block ×4, first 2 shown]
	ds_write2_b32 v35, v36, v37 offset1:4
	v_perm_b32 v36, v44, v3, s2
	v_perm_b32 v37, v45, v4, s2
	ds_write2_b32 v35, v17, v18 offset0:16 offset1:20
	v_perm_b32 v17, v30, v29, s2
	v_perm_b32 v18, v34, v33, s2
	ds_write2_b32 v35, v36, v37 offset0:8 offset1:12
	ds_write2_b32 v35, v17, v18 offset0:24 offset1:28
.LBB0_29:
	s_or_b64 exec, exec, s[4:5]
	s_waitcnt lgkmcnt(0)
	s_barrier
	ds_read2st64_b32 v[27:28], v55 offset1:8
	ds_read2st64_b32 v[41:42], v55 offset0:36 offset1:44
	ds_read2st64_b32 v[39:40], v55 offset0:72 offset1:80
	;; [unrolled: 1-line block ×7, first 2 shown]
	s_and_saveexec_b64 s[2:3], s[0:1]
	s_cbranch_execz .LBB0_31
; %bb.30:
	ds_read2st64_b32 v[1:2], v55 offset0:32 offset1:68
	ds_read2st64_b32 v[3:4], v55 offset0:104 offset1:140
	s_waitcnt lgkmcnt(1)
	v_lshrrev_b32_e32 v19, 16, v1
	v_lshrrev_b32_e32 v43, 16, v2
	s_waitcnt lgkmcnt(0)
	v_lshrrev_b32_e32 v44, 16, v3
	v_lshrrev_b32_e32 v45, 16, v4
.LBB0_31:
	s_or_b64 exec, exec, s[2:3]
	s_waitcnt lgkmcnt(6)
	v_lshrrev_b32_e32 v47, 16, v41
	v_mul_f16_sdwa v82, v20, v47 dst_sel:DWORD dst_unused:UNUSED_PAD src0_sel:WORD_1 src1_sel:DWORD
	s_waitcnt lgkmcnt(5)
	v_lshrrev_b32_e32 v48, 16, v39
	v_fma_f16 v82, v20, v41, v82
	v_mul_f16_sdwa v41, v20, v41 dst_sel:DWORD dst_unused:UNUSED_PAD src0_sel:WORD_1 src1_sel:DWORD
	v_fma_f16 v41, v20, v47, -v41
	v_mul_f16_sdwa v47, v21, v48 dst_sel:DWORD dst_unused:UNUSED_PAD src0_sel:WORD_1 src1_sel:DWORD
	s_waitcnt lgkmcnt(4)
	v_lshrrev_b32_e32 v49, 16, v37
	v_fma_f16 v47, v21, v39, v47
	v_mul_f16_sdwa v39, v21, v39 dst_sel:DWORD dst_unused:UNUSED_PAD src0_sel:WORD_1 src1_sel:DWORD
	v_fma_f16 v39, v21, v48, -v39
	v_mul_f16_sdwa v48, v22, v49 dst_sel:DWORD dst_unused:UNUSED_PAD src0_sel:WORD_1 src1_sel:DWORD
	v_lshrrev_b32_e32 v51, 16, v42
	v_fma_f16 v48, v22, v37, v48
	v_mul_f16_sdwa v37, v22, v37 dst_sel:DWORD dst_unused:UNUSED_PAD src0_sel:WORD_1 src1_sel:DWORD
	v_fma_f16 v37, v22, v49, -v37
	v_mul_f16_sdwa v49, v20, v51 dst_sel:DWORD dst_unused:UNUSED_PAD src0_sel:WORD_1 src1_sel:DWORD
	;; [unrolled: 5-line block ×4, first 2 shown]
	s_waitcnt lgkmcnt(2)
	v_lshrrev_b32_e32 v75, 16, v35
	v_fma_f16 v52, v22, v38, v52
	v_mul_f16_sdwa v38, v22, v38 dst_sel:DWORD dst_unused:UNUSED_PAD src0_sel:WORD_1 src1_sel:DWORD
	v_fma_f16 v38, v22, v57, -v38
	v_mul_f16_sdwa v57, v20, v75 dst_sel:DWORD dst_unused:UNUSED_PAD src0_sel:WORD_1 src1_sel:DWORD
	s_waitcnt lgkmcnt(1)
	v_lshrrev_b32_e32 v76, 16, v33
	v_fma_f16 v57, v20, v35, v57
	v_mul_f16_sdwa v35, v20, v35 dst_sel:DWORD dst_unused:UNUSED_PAD src0_sel:WORD_1 src1_sel:DWORD
	v_fma_f16 v35, v20, v75, -v35
	v_mul_f16_sdwa v75, v21, v76 dst_sel:DWORD dst_unused:UNUSED_PAD src0_sel:WORD_1 src1_sel:DWORD
	;; [unrolled: 6-line block ×3, first 2 shown]
	v_lshrrev_b32_e32 v79, 16, v36
	v_fma_f16 v76, v22, v29, v76
	v_mul_f16_sdwa v29, v22, v29 dst_sel:DWORD dst_unused:UNUSED_PAD src0_sel:WORD_1 src1_sel:DWORD
	v_fma_f16 v29, v22, v77, -v29
	v_mul_f16_sdwa v77, v20, v79 dst_sel:DWORD dst_unused:UNUSED_PAD src0_sel:WORD_1 src1_sel:DWORD
	v_lshrrev_b32_e32 v80, 16, v34
	v_fma_f16 v77, v20, v36, v77
	v_mul_f16_sdwa v36, v20, v36 dst_sel:DWORD dst_unused:UNUSED_PAD src0_sel:WORD_1 src1_sel:DWORD
	v_fma_f16 v36, v20, v79, -v36
	v_mul_f16_sdwa v79, v21, v80 dst_sel:DWORD dst_unused:UNUSED_PAD src0_sel:WORD_1 src1_sel:DWORD
	;; [unrolled: 5-line block ×3, first 2 shown]
	v_fma_f16 v80, v22, v30, v80
	v_mul_f16_sdwa v30, v22, v30 dst_sel:DWORD dst_unused:UNUSED_PAD src0_sel:WORD_1 src1_sel:DWORD
	v_fma_f16 v30, v22, v81, -v30
	v_mul_f16_sdwa v81, v20, v43 dst_sel:DWORD dst_unused:UNUSED_PAD src0_sel:WORD_1 src1_sel:DWORD
	v_fma_f16 v81, v20, v2, v81
	v_mul_f16_sdwa v2, v20, v2 dst_sel:DWORD dst_unused:UNUSED_PAD src0_sel:WORD_1 src1_sel:DWORD
	v_fma_f16 v2, v20, v43, -v2
	v_mul_f16_sdwa v20, v21, v44 dst_sel:DWORD dst_unused:UNUSED_PAD src0_sel:WORD_1 src1_sel:DWORD
	v_lshrrev_b32_e32 v46, 16, v27
	v_fma_f16 v20, v21, v3, v20
	v_mul_f16_sdwa v3, v21, v3 dst_sel:DWORD dst_unused:UNUSED_PAD src0_sel:WORD_1 src1_sel:DWORD
	v_fma_f16 v3, v21, v44, -v3
	v_mul_f16_sdwa v21, v22, v45 dst_sel:DWORD dst_unused:UNUSED_PAD src0_sel:WORD_1 src1_sel:DWORD
	v_sub_f16_e32 v39, v46, v39
	v_sub_f16_e32 v37, v41, v37
	v_lshrrev_b32_e32 v50, 16, v28
	v_fma_f16 v21, v22, v4, v21
	v_mul_f16_sdwa v4, v22, v4 dst_sel:DWORD dst_unused:UNUSED_PAD src0_sel:WORD_1 src1_sel:DWORD
	v_fma_f16 v43, v46, 2.0, -v39
	v_fma_f16 v41, v41, 2.0, -v37
	v_fma_f16 v4, v22, v45, -v4
	v_sub_f16_e32 v22, v27, v47
	v_sub_f16_e32 v44, v82, v48
	;; [unrolled: 1-line block ×5, first 2 shown]
	v_lshrrev_b32_e32 v73, 16, v17
	v_fma_f16 v27, v27, 2.0, -v22
	v_fma_f16 v45, v82, 2.0, -v44
	;; [unrolled: 1-line block ×3, first 2 shown]
	v_sub_f16_e32 v82, v39, v44
	v_sub_f16_e32 v43, v28, v51
	v_fma_f16 v44, v50, 2.0, -v40
	v_fma_f16 v42, v42, 2.0, -v38
	v_sub_f16_e32 v47, v27, v45
	v_sub_f16_e32 v45, v49, v52
	v_sub_f16_e32 v42, v44, v42
	v_add_f16_e32 v38, v43, v38
	v_sub_f16_e32 v33, v73, v33
	v_sub_f16_e32 v29, v35, v29
	v_lshrrev_b32_e32 v78, 16, v18
	v_fma_f16 v28, v28, 2.0, -v43
	v_fma_f16 v46, v49, 2.0, -v45
	;; [unrolled: 1-line block ×3, first 2 shown]
	v_sub_f16_e32 v51, v40, v45
	v_fma_f16 v52, v43, 2.0, -v38
	v_sub_f16_e32 v43, v17, v75
	v_fma_f16 v44, v73, 2.0, -v33
	;; [unrolled: 2-line block ×4, first 2 shown]
	v_fma_f16 v46, v57, 2.0, -v45
	v_sub_f16_e32 v35, v44, v35
	v_add_f16_e32 v29, v43, v29
	v_sub_f16_e32 v75, v33, v45
	v_sub_f16_e32 v34, v78, v34
	;; [unrolled: 1-line block ×5, first 2 shown]
	v_fma_f16 v73, v44, 2.0, -v35
	v_fma_f16 v76, v43, 2.0, -v29
	v_sub_f16_e32 v43, v18, v79
	v_fma_f16 v44, v78, 2.0, -v34
	v_fma_f16 v46, v77, 2.0, -v45
	;; [unrolled: 1-line block ×3, first 2 shown]
	v_sub_f16_e32 v79, v34, v45
	v_sub_f16_e32 v45, v19, v3
	;; [unrolled: 1-line block ×3, first 2 shown]
	v_add_f16_e32 v37, v22, v37
	v_sub_f16_e32 v36, v44, v36
	v_sub_f16_e32 v20, v1, v20
	v_fma_f16 v19, v19, 2.0, -v45
	v_fma_f16 v2, v2, 2.0, -v4
	;; [unrolled: 1-line block ×6, first 2 shown]
	v_add_f16_e32 v30, v43, v30
	v_sub_f16_e32 v44, v19, v2
	v_add_f16_e32 v4, v20, v4
	v_fma_f16 v18, v18, 2.0, -v43
	v_fma_f16 v80, v43, 2.0, -v30
	;; [unrolled: 1-line block ×5, first 2 shown]
	v_pack_b32_f16 v19, v27, v48
	v_pack_b32_f16 v20, v22, v39
	v_fma_f16 v28, v28, 2.0, -v49
	v_fma_f16 v40, v40, 2.0, -v51
	s_barrier
	ds_write2_b32 v88, v19, v20 offset1:32
	v_pack_b32_f16 v19, v47, v41
	v_pack_b32_f16 v20, v37, v82
	ds_write2_b32 v88, v19, v20 offset0:64 offset1:96
	v_pack_b32_f16 v19, v28, v50
	v_pack_b32_f16 v20, v52, v40
	v_fma_f16 v17, v17, 2.0, -v57
	v_fma_f16 v33, v33, 2.0, -v75
	ds_write2_b32 v89, v19, v20 offset1:32
	v_pack_b32_f16 v19, v49, v42
	v_pack_b32_f16 v20, v38, v51
	v_sub_f16_e32 v77, v18, v46
	v_sub_f16_e32 v21, v81, v21
	ds_write2_b32 v89, v19, v20 offset0:64 offset1:96
	v_pack_b32_f16 v17, v17, v73
	v_pack_b32_f16 v19, v76, v33
	v_fma_f16 v18, v18, 2.0, -v77
	v_fma_f16 v34, v34, 2.0, -v79
	;; [unrolled: 1-line block ×3, first 2 shown]
	ds_write2_b32 v90, v17, v19 offset1:32
	v_pack_b32_f16 v17, v57, v35
	v_pack_b32_f16 v19, v29, v75
	v_sub_f16_e32 v3, v1, v3
	v_sub_f16_e32 v46, v45, v21
	ds_write2_b32 v90, v17, v19 offset0:64 offset1:96
	v_pack_b32_f16 v17, v18, v78
	v_pack_b32_f16 v18, v80, v34
	v_fma_f16 v1, v1, 2.0, -v3
	v_fma_f16 v45, v45, 2.0, -v46
	ds_write2_b32 v92, v17, v18 offset1:32
	v_pack_b32_f16 v17, v77, v36
	v_pack_b32_f16 v18, v30, v79
	ds_write2_b32 v92, v17, v18 offset0:64 offset1:96
	s_and_saveexec_b64 s[2:3], s[0:1]
	s_cbranch_execz .LBB0_33
; %bb.32:
	buffer_load_dword v17, off, s[20:23], 0 ; 4-byte Folded Reload
	s_movk_i32 s4, 0x2780
	s_waitcnt vmcnt(0)
	v_and_or_b32 v17, v17, s4, v74
	s_mov_b32 s4, 0x5040100
	v_lshlrev_b32_e32 v17, 2, v17
	v_perm_b32 v18, v43, v1, s4
	v_perm_b32 v19, v45, v2, s4
	ds_write2_b32 v17, v18, v19 offset1:32
	v_perm_b32 v18, v44, v3, s4
	v_perm_b32 v19, v46, v4, s4
	ds_write2_b32 v17, v18, v19 offset0:64 offset1:96
.LBB0_33:
	s_or_b64 exec, exec, s[2:3]
	s_waitcnt lgkmcnt(0)
	s_barrier
	ds_read2st64_b32 v[19:20], v55 offset1:8
	ds_read2st64_b32 v[37:38], v55 offset0:36 offset1:44
	ds_read2st64_b32 v[35:36], v55 offset0:72 offset1:80
	;; [unrolled: 1-line block ×7, first 2 shown]
	s_and_saveexec_b64 s[2:3], s[0:1]
	s_cbranch_execz .LBB0_35
; %bb.34:
	ds_read2st64_b32 v[1:2], v55 offset0:32 offset1:68
	ds_read2st64_b32 v[3:4], v55 offset0:104 offset1:140
	s_waitcnt lgkmcnt(1)
	v_lshrrev_b32_e32 v43, 16, v1
	v_lshrrev_b32_e32 v45, 16, v2
	s_waitcnt lgkmcnt(0)
	v_lshrrev_b32_e32 v44, 16, v3
	v_lshrrev_b32_e32 v46, 16, v4
.LBB0_35:
	s_or_b64 exec, exec, s[2:3]
	s_waitcnt lgkmcnt(6)
	v_lshrrev_b32_e32 v48, 16, v37
	v_mul_f16_sdwa v82, v23, v48 dst_sel:DWORD dst_unused:UNUSED_PAD src0_sel:WORD_1 src1_sel:DWORD
	s_waitcnt lgkmcnt(5)
	v_lshrrev_b32_e32 v49, 16, v35
	v_fma_f16 v82, v23, v37, v82
	v_mul_f16_sdwa v37, v23, v37 dst_sel:DWORD dst_unused:UNUSED_PAD src0_sel:WORD_1 src1_sel:DWORD
	v_fma_f16 v37, v23, v48, -v37
	v_mul_f16_sdwa v48, v24, v49 dst_sel:DWORD dst_unused:UNUSED_PAD src0_sel:WORD_1 src1_sel:DWORD
	s_waitcnt lgkmcnt(4)
	v_lshrrev_b32_e32 v50, 16, v33
	v_fma_f16 v48, v24, v35, v48
	v_mul_f16_sdwa v35, v24, v35 dst_sel:DWORD dst_unused:UNUSED_PAD src0_sel:WORD_1 src1_sel:DWORD
	v_fma_f16 v35, v24, v49, -v35
	v_mul_f16_sdwa v49, v25, v50 dst_sel:DWORD dst_unused:UNUSED_PAD src0_sel:WORD_1 src1_sel:DWORD
	v_lshrrev_b32_e32 v52, 16, v38
	v_fma_f16 v49, v25, v33, v49
	v_mul_f16_sdwa v33, v25, v33 dst_sel:DWORD dst_unused:UNUSED_PAD src0_sel:WORD_1 src1_sel:DWORD
	v_fma_f16 v33, v25, v50, -v33
	v_mul_f16_sdwa v50, v23, v52 dst_sel:DWORD dst_unused:UNUSED_PAD src0_sel:WORD_1 src1_sel:DWORD
	;; [unrolled: 5-line block ×4, first 2 shown]
	s_waitcnt lgkmcnt(2)
	v_lshrrev_b32_e32 v75, 16, v29
	v_fma_f16 v57, v25, v34, v57
	v_mul_f16_sdwa v34, v25, v34 dst_sel:DWORD dst_unused:UNUSED_PAD src0_sel:WORD_1 src1_sel:DWORD
	v_fma_f16 v34, v25, v73, -v34
	v_mul_f16_sdwa v73, v23, v75 dst_sel:DWORD dst_unused:UNUSED_PAD src0_sel:WORD_1 src1_sel:DWORD
	s_waitcnt lgkmcnt(1)
	v_lshrrev_b32_e32 v76, 16, v27
	v_fma_f16 v73, v23, v29, v73
	v_mul_f16_sdwa v29, v23, v29 dst_sel:DWORD dst_unused:UNUSED_PAD src0_sel:WORD_1 src1_sel:DWORD
	v_fma_f16 v29, v23, v75, -v29
	v_mul_f16_sdwa v75, v24, v76 dst_sel:DWORD dst_unused:UNUSED_PAD src0_sel:WORD_1 src1_sel:DWORD
	;; [unrolled: 6-line block ×3, first 2 shown]
	v_lshrrev_b32_e32 v79, 16, v30
	v_fma_f16 v76, v25, v21, v76
	v_mul_f16_sdwa v21, v25, v21 dst_sel:DWORD dst_unused:UNUSED_PAD src0_sel:WORD_1 src1_sel:DWORD
	v_fma_f16 v21, v25, v77, -v21
	v_mul_f16_sdwa v77, v23, v79 dst_sel:DWORD dst_unused:UNUSED_PAD src0_sel:WORD_1 src1_sel:DWORD
	v_lshrrev_b32_e32 v80, 16, v28
	v_fma_f16 v77, v23, v30, v77
	v_mul_f16_sdwa v30, v23, v30 dst_sel:DWORD dst_unused:UNUSED_PAD src0_sel:WORD_1 src1_sel:DWORD
	v_fma_f16 v30, v23, v79, -v30
	v_mul_f16_sdwa v79, v24, v80 dst_sel:DWORD dst_unused:UNUSED_PAD src0_sel:WORD_1 src1_sel:DWORD
	v_lshrrev_b32_e32 v81, 16, v22
	v_fma_f16 v79, v24, v28, v79
	v_mul_f16_sdwa v28, v24, v28 dst_sel:DWORD dst_unused:UNUSED_PAD src0_sel:WORD_1 src1_sel:DWORD
	v_lshrrev_b32_e32 v47, 16, v19
	v_fma_f16 v28, v24, v80, -v28
	v_mul_f16_sdwa v80, v25, v81 dst_sel:DWORD dst_unused:UNUSED_PAD src0_sel:WORD_1 src1_sel:DWORD
	v_fma_f16 v80, v25, v22, v80
	v_mul_f16_sdwa v22, v25, v22 dst_sel:DWORD dst_unused:UNUSED_PAD src0_sel:WORD_1 src1_sel:DWORD
	v_sub_f16_e32 v48, v19, v48
	v_sub_f16_e32 v35, v47, v35
	;; [unrolled: 1-line block ×4, first 2 shown]
	v_lshrrev_b32_e32 v51, 16, v20
	v_fma_f16 v22, v25, v81, -v22
	v_fma_f16 v19, v19, 2.0, -v48
	v_fma_f16 v47, v47, 2.0, -v35
	;; [unrolled: 1-line block ×4, first 2 shown]
	v_sub_f16_e32 v81, v19, v81
	v_sub_f16_e32 v37, v47, v37
	v_add_f16_e32 v33, v48, v33
	v_sub_f16_e32 v49, v35, v49
	v_sub_f16_e32 v52, v20, v52
	;; [unrolled: 1-line block ×5, first 2 shown]
	v_lshrrev_b32_e32 v74, 16, v17
	v_fma_f16 v19, v19, 2.0, -v81
	v_fma_f16 v47, v47, 2.0, -v37
	;; [unrolled: 1-line block ×8, first 2 shown]
	v_sub_f16_e32 v50, v20, v50
	v_sub_f16_e32 v38, v51, v38
	v_add_f16_e32 v34, v52, v34
	v_sub_f16_e32 v57, v36, v57
	v_sub_f16_e32 v75, v17, v75
	;; [unrolled: 1-line block ×5, first 2 shown]
	v_pack_b32_f16 v19, v19, v47
	v_pack_b32_f16 v35, v48, v35
	v_lshrrev_b32_e32 v78, 16, v18
	v_fma_f16 v20, v20, 2.0, -v50
	v_fma_f16 v51, v51, 2.0, -v38
	;; [unrolled: 1-line block ×8, first 2 shown]
	s_barrier
	ds_write2st64_b32 v93, v19, v35 offset1:2
	v_pack_b32_f16 v19, v81, v37
	v_pack_b32_f16 v33, v33, v49
	v_sub_f16_e32 v73, v17, v73
	v_sub_f16_e32 v29, v74, v29
	v_add_f16_e32 v21, v75, v21
	v_sub_f16_e32 v76, v27, v76
	v_sub_f16_e32 v79, v18, v79
	;; [unrolled: 1-line block ×5, first 2 shown]
	ds_write2st64_b32 v93, v19, v33 offset0:4 offset1:6
	v_pack_b32_f16 v19, v20, v51
	v_pack_b32_f16 v20, v52, v36
	v_fma_f16 v17, v17, 2.0, -v73
	v_fma_f16 v74, v74, 2.0, -v29
	;; [unrolled: 1-line block ×8, first 2 shown]
	ds_write2st64_b32 v94, v19, v20 offset1:2
	v_pack_b32_f16 v19, v50, v38
	v_pack_b32_f16 v20, v34, v57
	v_sub_f16_e32 v77, v18, v77
	v_sub_f16_e32 v30, v78, v30
	v_add_f16_e32 v22, v79, v22
	v_sub_f16_e32 v80, v28, v80
	ds_write2st64_b32 v94, v19, v20 offset0:4 offset1:6
	v_pack_b32_f16 v17, v17, v74
	v_pack_b32_f16 v19, v75, v27
	v_fma_f16 v18, v18, 2.0, -v77
	v_fma_f16 v78, v78, 2.0, -v30
	;; [unrolled: 1-line block ×4, first 2 shown]
	ds_write2st64_b32 v95, v17, v19 offset1:2
	v_pack_b32_f16 v17, v73, v29
	v_pack_b32_f16 v19, v21, v76
	ds_write2st64_b32 v95, v17, v19 offset0:4 offset1:6
	v_pack_b32_f16 v17, v18, v78
	v_pack_b32_f16 v18, v79, v28
	v_or_b32_e32 v41, 0x3800, v55
	v_or_b32_e32 v42, 0x7800, v55
	;; [unrolled: 1-line block ×4, first 2 shown]
	ds_write2st64_b32 v96, v17, v18 offset1:2
	v_pack_b32_f16 v17, v77, v30
	v_pack_b32_f16 v18, v22, v80
	ds_write2st64_b32 v96, v17, v18 offset0:4 offset1:6
	s_and_saveexec_b64 s[2:3], s[0:1]
	s_cbranch_execz .LBB0_37
; %bb.36:
	v_mul_f16_sdwa v17, v24, v44 dst_sel:DWORD dst_unused:UNUSED_PAD src0_sel:WORD_1 src1_sel:DWORD
	v_mul_f16_sdwa v18, v23, v2 dst_sel:DWORD dst_unused:UNUSED_PAD src0_sel:WORD_1 src1_sel:DWORD
	;; [unrolled: 1-line block ×3, first 2 shown]
	v_fma_f16 v17, v24, v3, v17
	v_fma_f16 v18, v23, v45, -v18
	v_fma_f16 v19, v25, v46, -v19
	v_sub_f16_e32 v17, v1, v17
	v_sub_f16_e32 v19, v18, v19
	v_add_f16_e32 v20, v17, v19
	v_fma_f16 v21, v17, 2.0, -v20
	v_fma_f16 v1, v1, 2.0, -v17
	buffer_load_dword v17, off, s[20:23], 0 ; 4-byte Folded Reload
	v_mul_f16_sdwa v22, v23, v45 dst_sel:DWORD dst_unused:UNUSED_PAD src0_sel:WORD_1 src1_sel:DWORD
	v_mul_f16_sdwa v3, v24, v3 dst_sel:DWORD dst_unused:UNUSED_PAD src0_sel:WORD_1 src1_sel:DWORD
	v_fma_f16 v2, v23, v2, v22
	v_mul_f16_sdwa v22, v25, v46 dst_sel:DWORD dst_unused:UNUSED_PAD src0_sel:WORD_1 src1_sel:DWORD
	v_fma_f16 v3, v24, v44, -v3
	v_fma_f16 v4, v25, v4, v22
	v_sub_f16_e32 v3, v43, v3
	v_sub_f16_e32 v4, v2, v4
	;; [unrolled: 1-line block ×3, first 2 shown]
	v_fma_f16 v23, v3, 2.0, -v22
	v_fma_f16 v2, v2, 2.0, -v4
	;; [unrolled: 1-line block ×4, first 2 shown]
	v_sub_f16_e32 v2, v1, v2
	v_sub_f16_e32 v4, v3, v4
	s_movk_i32 s4, 0x2600
	v_fma_f16 v1, v1, 2.0, -v2
	v_fma_f16 v3, v3, 2.0, -v4
	v_pack_b32_f16 v1, v1, v3
	v_pack_b32_f16 v3, v21, v23
	s_waitcnt vmcnt(0)
	v_and_or_b32 v17, v17, s4, v84
	v_lshlrev_b32_e32 v17, 2, v17
	ds_write2st64_b32 v17, v1, v3 offset1:2
	v_pack_b32_f16 v1, v2, v4
	v_pack_b32_f16 v2, v20, v22
	ds_write2st64_b32 v17, v1, v2 offset0:4 offset1:6
.LBB0_37:
	s_or_b64 exec, exec, s[2:3]
	s_waitcnt lgkmcnt(0)
	s_barrier
	ds_read2st64_b32 v[1:2], v55 offset1:8
	ds_read2st64_b32 v[3:4], v55 offset0:32 offset1:48
	ds_read2st64_b32 v[17:18], v55 offset0:96 offset1:104
	;; [unrolled: 1-line block ×4, first 2 shown]
	ds_read_b32 v34, v41
	ds_read2st64_b32 v[23:24], v55 offset0:112 offset1:128
	ds_read_b32 v35, v42
	ds_read_b32 v36, v40
	;; [unrolled: 1-line block ×3, first 2 shown]
	s_waitcnt lgkmcnt(4)
	v_lshrrev_b32_e32 v38, 16, v34
	v_lshrrev_b32_e32 v45, 16, v21
	;; [unrolled: 1-line block ×3, first 2 shown]
	v_mul_f16_sdwa v75, v31, v29 dst_sel:DWORD dst_unused:UNUSED_PAD src0_sel:WORD_1 src1_sel:DWORD
	v_lshrrev_b32_e32 v30, 16, v17
	v_fma_f16 v75, v31, v4, v75
	v_mul_f16_sdwa v4, v31, v4 dst_sel:DWORD dst_unused:UNUSED_PAD src0_sel:WORD_1 src1_sel:DWORD
	v_fma_f16 v4, v31, v29, -v4
	v_mul_f16_sdwa v29, v32, v30 dst_sel:DWORD dst_unused:UNUSED_PAD src0_sel:WORD_1 src1_sel:DWORD
	v_fma_f16 v29, v32, v17, v29
	v_mul_f16_sdwa v17, v32, v17 dst_sel:DWORD dst_unused:UNUSED_PAD src0_sel:WORD_1 src1_sel:DWORD
	v_fma_f16 v17, v32, v30, -v17
	v_mul_f16_sdwa v30, v31, v38 dst_sel:DWORD dst_unused:UNUSED_PAD src0_sel:WORD_1 src1_sel:DWORD
	v_lshrrev_b32_e32 v43, 16, v18
	v_fma_f16 v30, v31, v34, v30
	v_mul_f16_sdwa v34, v31, v34 dst_sel:DWORD dst_unused:UNUSED_PAD src0_sel:WORD_1 src1_sel:DWORD
	v_fma_f16 v34, v31, v38, -v34
	v_mul_f16_sdwa v38, v32, v43 dst_sel:DWORD dst_unused:UNUSED_PAD src0_sel:WORD_1 src1_sel:DWORD
	v_fma_f16 v38, v32, v18, v38
	v_mul_f16_sdwa v18, v32, v18 dst_sel:DWORD dst_unused:UNUSED_PAD src0_sel:WORD_1 src1_sel:DWORD
	v_fma_f16 v18, v32, v43, -v18
	v_mul_f16_sdwa v43, v31, v45 dst_sel:DWORD dst_unused:UNUSED_PAD src0_sel:WORD_1 src1_sel:DWORD
	s_waitcnt lgkmcnt(3)
	v_lshrrev_b32_e32 v46, 16, v23
	v_fma_f16 v43, v31, v21, v43
	v_mul_f16_sdwa v21, v31, v21 dst_sel:DWORD dst_unused:UNUSED_PAD src0_sel:WORD_1 src1_sel:DWORD
	ds_read2st64_b32 v[27:28], v55 offset0:80 offset1:88
	v_fma_f16 v21, v31, v45, -v21
	v_mul_f16_sdwa v45, v32, v46 dst_sel:DWORD dst_unused:UNUSED_PAD src0_sel:WORD_1 src1_sel:DWORD
	v_lshrrev_b32_e32 v48, 16, v22
	v_fma_f16 v45, v32, v23, v45
	v_mul_f16_sdwa v23, v32, v23 dst_sel:DWORD dst_unused:UNUSED_PAD src0_sel:WORD_1 src1_sel:DWORD
	v_fma_f16 v23, v32, v46, -v23
	v_mul_f16_sdwa v46, v31, v48 dst_sel:DWORD dst_unused:UNUSED_PAD src0_sel:WORD_1 src1_sel:DWORD
	s_waitcnt lgkmcnt(3)
	v_lshrrev_b32_e32 v49, 16, v35
	v_fma_f16 v46, v31, v22, v46
	v_mul_f16_sdwa v22, v31, v22 dst_sel:DWORD dst_unused:UNUSED_PAD src0_sel:WORD_1 src1_sel:DWORD
	v_fma_f16 v22, v31, v48, -v22
	v_mul_f16_sdwa v48, v32, v49 dst_sel:DWORD dst_unused:UNUSED_PAD src0_sel:WORD_1 src1_sel:DWORD
	s_waitcnt lgkmcnt(0)
	v_lshrrev_b32_e32 v51, 16, v27
	v_fma_f16 v48, v32, v35, v48
	v_mul_f16_sdwa v35, v32, v35 dst_sel:DWORD dst_unused:UNUSED_PAD src0_sel:WORD_1 src1_sel:DWORD
	v_fma_f16 v35, v32, v49, -v35
	v_mul_f16_sdwa v49, v31, v51 dst_sel:DWORD dst_unused:UNUSED_PAD src0_sel:WORD_1 src1_sel:DWORD
	v_lshrrev_b32_e32 v52, 16, v24
	v_fma_f16 v49, v31, v27, v49
	v_mul_f16_sdwa v27, v31, v27 dst_sel:DWORD dst_unused:UNUSED_PAD src0_sel:WORD_1 src1_sel:DWORD
	v_fma_f16 v27, v31, v51, -v27
	v_mul_f16_sdwa v51, v32, v52 dst_sel:DWORD dst_unused:UNUSED_PAD src0_sel:WORD_1 src1_sel:DWORD
	;; [unrolled: 5-line block ×4, first 2 shown]
	v_fma_f16 v31, v32, v37, v31
	v_mul_f16_sdwa v37, v32, v37 dst_sel:DWORD dst_unused:UNUSED_PAD src0_sel:WORD_1 src1_sel:DWORD
	v_add_f16_e32 v73, v75, v29
	v_lshrrev_b32_e32 v25, 16, v1
	v_fma_f16 v32, v32, v74, -v37
	v_add_f16_e32 v37, v1, v75
	v_fma_f16 v1, v73, -0.5, v1
	v_sub_f16_e32 v73, v4, v17
	s_mov_b32 s3, 0xbaee
	s_movk_i32 s2, 0x3aee
	v_fma_f16 v74, v73, s3, v1
	v_fma_f16 v1, v73, s2, v1
	v_add_f16_e32 v73, v25, v4
	v_add_f16_e32 v4, v4, v17
	;; [unrolled: 1-line block ×4, first 2 shown]
	v_fma_f16 v4, v4, -0.5, v25
	v_sub_f16_e32 v17, v75, v29
	v_add_f16_e32 v29, v30, v38
	v_lshrrev_b32_e32 v33, 16, v2
	v_fma_f16 v25, v17, s2, v4
	v_fma_f16 v4, v17, s3, v4
	v_add_f16_e32 v17, v2, v30
	v_fma_f16 v2, v29, -0.5, v2
	v_sub_f16_e32 v29, v34, v18
	v_fma_f16 v75, v29, s3, v2
	v_fma_f16 v2, v29, s2, v2
	v_add_f16_e32 v29, v33, v34
	v_add_f16_e32 v29, v29, v18
	v_add_f16_e32 v18, v34, v18
	v_fma_f16 v18, v18, -0.5, v33
	v_sub_f16_e32 v30, v30, v38
	v_add_f16_e32 v34, v43, v45
	v_lshrrev_b32_e32 v44, 16, v19
	v_fma_f16 v33, v30, s2, v18
	v_fma_f16 v18, v30, s3, v18
	v_add_f16_e32 v30, v19, v43
	v_fma_f16 v19, v34, -0.5, v19
	v_sub_f16_e32 v34, v21, v23
	v_add_f16_e32 v17, v17, v38
	v_fma_f16 v38, v34, s3, v19
	v_fma_f16 v19, v34, s2, v19
	v_add_f16_e32 v34, v44, v21
	v_add_f16_e32 v21, v21, v23
	v_add_f16_e32 v34, v34, v23
	v_fma_f16 v21, v21, -0.5, v44
	v_sub_f16_e32 v23, v43, v45
	v_add_f16_e32 v44, v46, v48
	v_lshrrev_b32_e32 v47, 16, v20
	v_fma_f16 v43, v23, s2, v21
	v_fma_f16 v21, v23, s3, v21
	v_add_f16_e32 v23, v20, v46
	v_fma_f16 v20, v44, -0.5, v20
	v_sub_f16_e32 v44, v22, v35
	v_add_f16_e32 v30, v30, v45
	;; [unrolled: 15-line block ×3, first 2 shown]
	v_fma_f16 v48, v47, s3, v3
	v_fma_f16 v3, v47, s2, v3
	v_add_f16_e32 v47, v50, v27
	v_pack_b32_f16 v1, v1, v4
	v_pack_b32_f16 v4, v17, v29
	;; [unrolled: 1-line block ×3, first 2 shown]
	v_add_f16_e32 v47, v47, v24
	v_add_f16_e32 v24, v27, v24
	s_barrier
	ds_write2st64_b32 v55, v1, v4 offset0:16 offset1:24
	v_pack_b32_f16 v1, v75, v33
	ds_write_b32 v40, v2
	v_pack_b32_f16 v2, v30, v34
	v_fma_f16 v24, v24, -0.5, v50
	v_sub_f16_e32 v27, v49, v51
	v_add_f16_e32 v50, v52, v31
	ds_write2st64_b32 v55, v1, v2 offset0:32 offset1:48
	v_pack_b32_f16 v1, v38, v43
	v_lshrrev_b32_e32 v57, 16, v36
	v_fma_f16 v49, v27, s2, v24
	v_fma_f16 v24, v27, s3, v24
	v_add_f16_e32 v27, v36, v52
	v_fma_f16 v36, v50, -0.5, v36
	v_sub_f16_e32 v50, v28, v32
	ds_write_b32 v41, v1
	v_pack_b32_f16 v1, v19, v21
	v_pack_b32_f16 v2, v23, v44
	v_add_f16_e32 v35, v35, v51
	v_fma_f16 v51, v50, s3, v36
	v_fma_f16 v36, v50, s2, v36
	v_add_f16_e32 v50, v57, v28
	v_add_f16_e32 v28, v28, v32
	ds_write2st64_b32 v55, v1, v2 offset0:64 offset1:72
	v_pack_b32_f16 v1, v45, v46
	v_pack_b32_f16 v2, v20, v22
	v_add_f16_e32 v27, v27, v31
	v_add_f16_e32 v50, v50, v32
	v_fma_f16 v28, v28, -0.5, v57
	v_sub_f16_e32 v31, v52, v31
	ds_write2st64_b32 v55, v1, v2 offset0:80 offset1:88
	v_pack_b32_f16 v1, v35, v47
	v_pack_b32_f16 v2, v48, v49
	v_fma_f16 v32, v31, s2, v28
	ds_write2st64_b32 v55, v1, v2 offset0:96 offset1:104
	v_pack_b32_f16 v2, v27, v50
	v_fma_f16 v28, v31, s3, v28
	v_pack_b32_f16 v1, v3, v24
	ds_write_b32 v42, v2
	v_pack_b32_f16 v2, v51, v32
	v_pack_b32_f16 v31, v37, v73
	;; [unrolled: 1-line block ×3, first 2 shown]
	ds_write2st64_b32 v55, v1, v2 offset0:112 offset1:128
	v_pack_b32_f16 v1, v36, v28
	ds_write2st64_b32 v55, v31, v25 offset1:8
	ds_write_b32 v39, v1
	s_waitcnt lgkmcnt(0)
	s_barrier
	ds_read2st64_b32 v[1:2], v55 offset1:8
	ds_read2st64_b32 v[3:4], v55 offset0:16 offset1:24
	ds_read2st64_b32 v[17:18], v55 offset0:32 offset1:48
	;; [unrolled: 1-line block ×4, first 2 shown]
	ds_read_b32 v32, v42
	s_waitcnt lgkmcnt(4)
	v_lshrrev_b32_e32 v29, 16, v4
	v_mul_f16_sdwa v73, v5, v29 dst_sel:DWORD dst_unused:UNUSED_PAD src0_sel:WORD_1 src1_sel:DWORD
	s_waitcnt lgkmcnt(3)
	v_lshrrev_b32_e32 v30, 16, v18
	v_fma_f16 v73, v5, v4, v73
	v_mul_f16_sdwa v4, v5, v4 dst_sel:DWORD dst_unused:UNUSED_PAD src0_sel:WORD_1 src1_sel:DWORD
	v_fma_f16 v4, v5, v29, -v4
	v_mul_f16_sdwa v5, v6, v30 dst_sel:DWORD dst_unused:UNUSED_PAD src0_sel:WORD_1 src1_sel:DWORD
	s_waitcnt lgkmcnt(2)
	v_lshrrev_b32_e32 v31, 16, v20
	v_fma_f16 v5, v6, v18, v5
	v_mul_f16_sdwa v18, v6, v18 dst_sel:DWORD dst_unused:UNUSED_PAD src0_sel:WORD_1 src1_sel:DWORD
	v_fma_f16 v6, v6, v30, -v18
	v_mul_f16_sdwa v18, v7, v31 dst_sel:DWORD dst_unused:UNUSED_PAD src0_sel:WORD_1 src1_sel:DWORD
	s_waitcnt lgkmcnt(1)
	v_lshrrev_b32_e32 v33, 16, v21
	ds_read_b32 v34, v40
	ds_read_b32 v35, v39
	;; [unrolled: 1-line block ×3, first 2 shown]
	v_fma_f16 v18, v7, v20, v18
	v_mul_f16_sdwa v20, v7, v20 dst_sel:DWORD dst_unused:UNUSED_PAD src0_sel:WORD_1 src1_sel:DWORD
	ds_read2st64_b32 v[23:24], v55 offset0:80 offset1:88
	v_fma_f16 v7, v7, v31, -v20
	v_mul_f16_sdwa v20, v8, v33 dst_sel:DWORD dst_unused:UNUSED_PAD src0_sel:WORD_1 src1_sel:DWORD
	s_waitcnt lgkmcnt(4)
	v_lshrrev_b32_e32 v37, 16, v32
	v_fma_f16 v20, v8, v21, v20
	v_mul_f16_sdwa v21, v8, v21 dst_sel:DWORD dst_unused:UNUSED_PAD src0_sel:WORD_1 src1_sel:DWORD
	ds_read2st64_b32 v[27:28], v55 offset0:112 offset1:128
	s_waitcnt lgkmcnt(4)
	v_lshrrev_b32_e32 v49, 16, v34
	v_fma_f16 v8, v8, v33, -v21
	v_mul_f16_sdwa v21, v98, v37 dst_sel:DWORD dst_unused:UNUSED_PAD src0_sel:WORD_1 src1_sel:DWORD
	v_lshrrev_b32_e32 v50, 16, v19
	v_fma_f16 v21, v98, v32, v21
	v_mul_f16_sdwa v29, v98, v32 dst_sel:DWORD dst_unused:UNUSED_PAD src0_sel:WORD_1 src1_sel:DWORD
	v_mul_f16_sdwa v32, v13, v49 dst_sel:DWORD dst_unused:UNUSED_PAD src0_sel:WORD_1 src1_sel:DWORD
	;; [unrolled: 1-line block ×3, first 2 shown]
	v_fma_f16 v32, v13, v34, v32
	v_fma_f16 v13, v13, v49, -v33
	v_mul_f16_sdwa v33, v14, v50 dst_sel:DWORD dst_unused:UNUSED_PAD src0_sel:WORD_1 src1_sel:DWORD
	s_waitcnt lgkmcnt(1)
	v_lshrrev_b32_e32 v51, 16, v24
	v_fma_f16 v33, v14, v19, v33
	v_mul_f16_sdwa v19, v14, v19 dst_sel:DWORD dst_unused:UNUSED_PAD src0_sel:WORD_1 src1_sel:DWORD
	v_lshrrev_b32_e32 v43, 16, v17
	v_fma_f16 v14, v14, v50, -v19
	v_mul_f16_sdwa v19, v15, v51 dst_sel:DWORD dst_unused:UNUSED_PAD src0_sel:WORD_1 src1_sel:DWORD
	s_waitcnt lgkmcnt(0)
	v_lshrrev_b32_e32 v52, 16, v27
	v_mul_f16_sdwa v30, v9, v43 dst_sel:DWORD dst_unused:UNUSED_PAD src0_sel:WORD_1 src1_sel:DWORD
	v_fma_f16 v19, v15, v24, v19
	v_mul_f16_sdwa v24, v15, v24 dst_sel:DWORD dst_unused:UNUSED_PAD src0_sel:WORD_1 src1_sel:DWORD
	v_lshrrev_b32_e32 v44, 16, v36
	v_fma_f16 v30, v9, v17, v30
	v_mul_f16_sdwa v17, v9, v17 dst_sel:DWORD dst_unused:UNUSED_PAD src0_sel:WORD_1 src1_sel:DWORD
	v_fma_f16 v15, v15, v51, -v24
	v_mul_f16_sdwa v24, v16, v52 dst_sel:DWORD dst_unused:UNUSED_PAD src0_sel:WORD_1 src1_sel:DWORD
	v_lshrrev_b32_e32 v57, 16, v35
	v_fma_f16 v9, v9, v43, -v17
	v_mul_f16_sdwa v17, v10, v44 dst_sel:DWORD dst_unused:UNUSED_PAD src0_sel:WORD_1 src1_sel:DWORD
	v_fma_f16 v24, v16, v27, v24
	v_mul_f16_sdwa v27, v16, v27 dst_sel:DWORD dst_unused:UNUSED_PAD src0_sel:WORD_1 src1_sel:DWORD
	v_fma_f16 v17, v10, v36, v17
	v_mul_f16_sdwa v31, v10, v36 dst_sel:DWORD dst_unused:UNUSED_PAD src0_sel:WORD_1 src1_sel:DWORD
	v_fma_f16 v16, v16, v52, -v27
	v_mul_f16_sdwa v27, v100, v57 dst_sel:DWORD dst_unused:UNUSED_PAD src0_sel:WORD_1 src1_sel:DWORD
	v_add_f16_e32 v36, v5, v20
	v_lshrrev_b32_e32 v25, 16, v1
	v_fma_f16 v27, v100, v35, v27
	v_mul_f16_sdwa v34, v100, v35 dst_sel:DWORD dst_unused:UNUSED_PAD src0_sel:WORD_1 src1_sel:DWORD
	v_add_f16_e32 v35, v1, v5
	v_fma_f16 v1, v36, -0.5, v1
	v_sub_f16_e32 v36, v6, v8
	v_fma_f16 v29, v98, v37, -v29
	v_add_f16_e32 v35, v35, v20
	v_fma_f16 v37, v36, s3, v1
	v_fma_f16 v1, v36, s2, v1
	v_add_f16_e32 v36, v25, v6
	v_add_f16_e32 v6, v6, v8
	v_sub_f16_e32 v5, v5, v20
	v_add_f16_e32 v20, v18, v21
	v_fma_f16 v6, v6, -0.5, v25
	v_fma_f16 v20, v20, -0.5, v73
	v_sub_f16_e32 v25, v7, v29
	v_lshrrev_b32_e32 v45, 16, v23
	v_fma_f16 v43, v25, s3, v20
	v_fma_f16 v20, v25, s2, v20
	v_add_f16_e32 v25, v4, v7
	v_add_f16_e32 v7, v7, v29
	v_fma_f16 v10, v10, v44, -v31
	v_mul_f16_sdwa v31, v11, v45 dst_sel:DWORD dst_unused:UNUSED_PAD src0_sel:WORD_1 src1_sel:DWORD
	v_fma_f16 v4, v7, -0.5, v4
	v_sub_f16_e32 v7, v18, v21
	v_lshrrev_b32_e32 v46, 16, v22
	v_fma_f16 v31, v11, v23, v31
	v_mul_f16_sdwa v23, v11, v23 dst_sel:DWORD dst_unused:UNUSED_PAD src0_sel:WORD_1 src1_sel:DWORD
	v_add_f16_e32 v36, v36, v8
	v_fma_f16 v8, v5, s2, v6
	v_fma_f16 v5, v5, s3, v6
	v_add_f16_e32 v6, v73, v18
	v_fma_f16 v18, v7, s2, v4
	v_fma_f16 v11, v11, v45, -v23
	v_mul_f16_sdwa v23, v12, v46 dst_sel:DWORD dst_unused:UNUSED_PAD src0_sel:WORD_1 src1_sel:DWORD
	v_add_f16_e32 v6, v6, v21
	v_fma_f16 v4, v7, s3, v4
	v_mul_f16_e32 v21, 0xbaee, v18
	v_mul_f16_e32 v18, 0.5, v18
	v_fma_f16 v23, v12, v22, v23
	v_mul_f16_sdwa v22, v12, v22 dst_sel:DWORD dst_unused:UNUSED_PAD src0_sel:WORD_1 src1_sel:DWORD
	v_mul_f16_e32 v44, 0xbaee, v4
	v_fma_f16 v18, v43, s2, v18
	v_mul_f16_e32 v4, -0.5, v4
	v_lshrrev_b32_e32 v47, 16, v28
	v_fma_f16 v12, v12, v46, -v22
	v_fma_f16 v21, v43, 0.5, v21
	v_add_f16_e32 v43, v8, v18
	v_fma_f16 v4, v20, s2, v4
	v_sub_f16_e32 v8, v8, v18
	v_add_f16_e32 v18, v17, v23
	v_lshrrev_b32_e32 v38, 16, v2
	v_mul_f16_sdwa v22, v99, v47 dst_sel:DWORD dst_unused:UNUSED_PAD src0_sel:WORD_1 src1_sel:DWORD
	v_fma_f16 v44, v20, -0.5, v44
	v_add_f16_e32 v20, v5, v4
	v_sub_f16_e32 v4, v5, v4
	v_add_f16_e32 v5, v2, v17
	v_fma_f16 v2, v18, -0.5, v2
	v_sub_f16_e32 v18, v10, v12
	v_fma_f16 v22, v99, v28, v22
	v_mul_f16_sdwa v28, v99, v28 dst_sel:DWORD dst_unused:UNUSED_PAD src0_sel:WORD_1 src1_sel:DWORD
	v_add_f16_e32 v7, v35, v6
	v_sub_f16_e32 v6, v35, v6
	v_fma_f16 v35, v18, s3, v2
	v_fma_f16 v2, v18, s2, v2
	v_add_f16_e32 v18, v38, v10
	v_add_f16_e32 v10, v10, v12
	v_fma_f16 v28, v99, v47, -v28
	v_add_f16_e32 v5, v5, v23
	v_add_f16_e32 v18, v18, v12
	v_fma_f16 v10, v10, -0.5, v38
	v_sub_f16_e32 v12, v17, v23
	v_add_f16_e32 v23, v31, v22
	v_add_f16_e32 v25, v25, v29
	v_fma_f16 v17, v12, s2, v10
	v_fma_f16 v10, v12, s3, v10
	v_add_f16_e32 v12, v30, v31
	v_fma_f16 v23, v23, -0.5, v30
	v_sub_f16_e32 v30, v11, v28
	v_add_f16_e32 v46, v36, v25
	v_sub_f16_e32 v25, v36, v25
	v_fma_f16 v36, v30, s3, v23
	v_fma_f16 v23, v30, s2, v23
	v_add_f16_e32 v30, v9, v11
	v_add_f16_e32 v11, v11, v28
	v_fma_f16 v9, v11, -0.5, v9
	v_sub_f16_e32 v11, v31, v22
	v_add_f16_e32 v12, v12, v22
	v_fma_f16 v22, v11, s2, v9
	v_add_f16_e32 v30, v30, v28
	v_fma_f16 v9, v11, s3, v9
	v_mul_f16_e32 v28, 0xbaee, v22
	v_mul_f16_e32 v22, 0.5, v22
	v_add_f16_e32 v29, v37, v21
	v_sub_f16_e32 v21, v37, v21
	v_mul_f16_e32 v37, 0xbaee, v9
	v_fma_f16 v22, v36, s2, v22
	v_mul_f16_e32 v9, -0.5, v9
	v_fma_f16 v28, v36, 0.5, v28
	v_add_f16_e32 v36, v17, v22
	v_fma_f16 v9, v23, s2, v9
	v_sub_f16_e32 v17, v17, v22
	v_add_f16_e32 v22, v33, v24
	v_lshrrev_b32_e32 v48, 16, v3
	v_fma_f16 v37, v23, -0.5, v37
	v_add_f16_e32 v23, v10, v9
	v_sub_f16_e32 v9, v10, v9
	v_add_f16_e32 v10, v3, v33
	v_fma_f16 v3, v22, -0.5, v3
	v_sub_f16_e32 v22, v14, v16
	v_add_f16_e32 v11, v5, v12
	v_add_f16_e32 v31, v35, v28
	v_sub_f16_e32 v5, v5, v12
	v_sub_f16_e32 v12, v35, v28
	v_fma_f16 v28, v22, s3, v3
	v_fma_f16 v3, v22, s2, v3
	v_add_f16_e32 v22, v48, v14
	v_add_f16_e32 v14, v14, v16
	v_fma_f16 v34, v100, v57, -v34
	v_add_f16_e32 v45, v1, v44
	v_sub_f16_e32 v1, v1, v44
	v_add_f16_e32 v44, v18, v30
	v_sub_f16_e32 v18, v18, v30
	v_add_f16_e32 v22, v22, v16
	v_fma_f16 v14, v14, -0.5, v48
	v_sub_f16_e32 v16, v33, v24
	v_add_f16_e32 v30, v19, v27
	v_add_f16_e32 v10, v10, v24
	v_fma_f16 v24, v16, s2, v14
	v_fma_f16 v14, v16, s3, v14
	v_add_f16_e32 v16, v32, v19
	v_fma_f16 v30, v30, -0.5, v32
	v_sub_f16_e32 v32, v15, v34
	v_fma_f16 v33, v32, s3, v30
	v_fma_f16 v30, v32, s2, v30
	v_add_f16_e32 v32, v13, v15
	v_add_f16_e32 v15, v15, v34
	v_fma_f16 v13, v15, -0.5, v13
	v_sub_f16_e32 v15, v19, v27
	v_fma_f16 v19, v15, s2, v13
	v_fma_f16 v13, v15, s3, v13
	v_add_f16_e32 v16, v16, v27
	v_add_f16_e32 v32, v32, v34
	v_mul_f16_e32 v27, 0xbaee, v19
	v_mul_f16_e32 v35, 0xbaee, v13
	v_mul_f16_e32 v19, 0.5, v19
	v_mul_f16_e32 v13, -0.5, v13
	v_add_f16_e32 v15, v10, v16
	v_fma_f16 v27, v33, 0.5, v27
	v_add_f16_e32 v47, v22, v32
	v_fma_f16 v19, v33, s2, v19
	v_fma_f16 v13, v30, s2, v13
	v_pack_b32_f16 v8, v21, v8
	v_pack_b32_f16 v1, v1, v4
	;; [unrolled: 1-line block ×3, first 2 shown]
	v_add_f16_e32 v34, v28, v27
	v_fma_f16 v35, v30, -0.5, v35
	v_add_f16_e32 v33, v24, v19
	v_add_f16_e32 v30, v14, v13
	v_sub_f16_e32 v13, v14, v13
	v_pack_b32_f16 v7, v7, v46
	v_pack_b32_f16 v14, v29, v43
	ds_write_b32 v42, v1
	v_pack_b32_f16 v1, v11, v44
	ds_write2st64_b32 v55, v8, v4 offset0:96 offset1:104
	v_pack_b32_f16 v4, v15, v47
	v_add_f16_e32 v38, v2, v37
	v_sub_f16_e32 v2, v2, v37
	v_add_f16_e32 v37, v3, v35
	v_pack_b32_f16 v20, v45, v20
	ds_write2st64_b32 v55, v7, v1 offset1:8
	v_pack_b32_f16 v1, v31, v36
	ds_write2st64_b32 v55, v4, v14 offset0:16 offset1:24
	v_pack_b32_f16 v4, v34, v33
	v_sub_f16_e32 v10, v10, v16
	v_sub_f16_e32 v22, v22, v32
	v_pack_b32_f16 v6, v6, v25
	ds_write2st64_b32 v55, v1, v20 offset0:32 offset1:48
	v_pack_b32_f16 v1, v38, v23
	ds_write_b32 v40, v4
	v_pack_b32_f16 v4, v37, v30
	v_sub_f16_e32 v16, v28, v27
	v_sub_f16_e32 v19, v24, v19
	ds_write_b32 v41, v1
	v_pack_b32_f16 v1, v5, v18
	ds_write2st64_b32 v55, v4, v6 offset0:64 offset1:72
	v_pack_b32_f16 v4, v10, v22
	v_sub_f16_e32 v3, v3, v35
	v_pack_b32_f16 v2, v2, v9
	ds_write2st64_b32 v55, v1, v4 offset0:80 offset1:88
	v_pack_b32_f16 v1, v16, v19
	ds_write2st64_b32 v55, v1, v2 offset0:112 offset1:128
	v_pack_b32_f16 v1, v3, v13
	ds_write_b32 v39, v1
	s_waitcnt lgkmcnt(0)
	s_barrier
	ds_read2st64_b32 v[1:2], v55 offset1:8
	s_mov_b32 s14, 0x1c71c71c
	s_mov_b32 s15, 0x3f1c71c7
	v_mad_u64_u32 v[5:6], s[2:3], s10, v26, 0
	s_waitcnt lgkmcnt(0)
	v_lshrrev_b32_e32 v8, 16, v1
	v_mul_f16_sdwa v3, v72, v8 dst_sel:DWORD dst_unused:UNUSED_PAD src0_sel:WORD_1 src1_sel:DWORD
	v_fma_f16 v3, v72, v1, v3
	v_cvt_f32_f16_e32 v3, v3
	s_movk_i32 s19, 0x1ff
	v_mad_u64_u32 v[6:7], s[2:3], s11, v26, v[6:7]
	v_cvt_f64_f32_e32 v[3:4], v3
	s_movk_i32 s16, 0xffe
	v_mul_f16_sdwa v1, v72, v1 dst_sel:DWORD dst_unused:UNUSED_PAD src0_sel:WORD_1 src1_sel:DWORD
	v_fma_f16 v1, v72, v8, -v1
	v_mul_f64 v[3:4], v[3:4], s[14:15]
	v_cvt_f32_f16_e32 v1, v1
	v_mov_b32_e32 v8, 0x7c00
	s_movk_i32 s17, 0x40f
	s_mov_b32 s18, 0x8000
	v_lshlrev_b64 v[5:6], 2, v[5:6]
	v_and_or_b32 v3, v4, s19, v3
	v_cmp_ne_u32_e32 vcc, 0, v3
	v_cndmask_b32_e64 v3, 0, 1, vcc
	v_lshrrev_b32_e32 v7, 8, v4
	v_bfe_u32 v9, v4, 20, 11
	v_and_or_b32 v3, v7, s16, v3
	v_sub_u32_e32 v10, 0x3f1, v9
	v_or_b32_e32 v7, 0x1000, v3
	v_med3_i32 v10, v10, 0, 13
	v_lshrrev_b32_e32 v11, v10, v7
	v_lshlrev_b32_e32 v10, v10, v11
	v_cmp_ne_u32_e32 vcc, v10, v7
	v_cndmask_b32_e64 v7, 0, 1, vcc
	v_or_b32_e32 v7, v11, v7
	v_add_u32_e32 v11, 0xfffffc10, v9
	v_lshl_or_b32 v9, v11, 12, v3
	v_cmp_gt_i32_e32 vcc, 1, v11
	v_cndmask_b32_e32 v7, v9, v7, vcc
	v_and_b32_e32 v9, 7, v7
	v_cmp_lt_i32_e32 vcc, 5, v9
	v_cmp_eq_u32_e64 s[2:3], 3, v9
	v_cvt_f64_f32_e32 v[9:10], v1
	v_lshrrev_b32_e32 v7, 2, v7
	s_or_b64 vcc, s[2:3], vcc
	v_addc_co_u32_e32 v7, vcc, 0, v7, vcc
	v_mul_f64 v[9:10], v[9:10], s[14:15]
	v_cmp_gt_i32_e32 vcc, 31, v11
	v_cndmask_b32_e32 v1, v8, v7, vcc
	v_cmp_ne_u32_e32 vcc, 0, v3
	v_cndmask_b32_e64 v3, 0, 1, vcc
	v_lshl_or_b32 v3, v3, 9, v8
	v_cmp_eq_u32_e32 vcc, s17, v11
	v_cndmask_b32_e32 v1, v1, v3, vcc
	v_lshrrev_b32_e32 v3, 16, v4
	v_and_or_b32 v7, v3, s18, v1
	v_and_or_b32 v1, v10, s19, v9
	v_cmp_ne_u32_e32 vcc, 0, v1
	v_cndmask_b32_e64 v1, 0, 1, vcc
	v_lshrrev_b32_e32 v3, 8, v10
	v_bfe_u32 v4, v10, 20, 11
	v_and_or_b32 v1, v3, s16, v1
	v_sub_u32_e32 v9, 0x3f1, v4
	v_or_b32_e32 v3, 0x1000, v1
	v_med3_i32 v9, v9, 0, 13
	v_lshrrev_b32_e32 v11, v9, v3
	v_lshlrev_b32_e32 v9, v9, v11
	v_cmp_ne_u32_e32 vcc, v9, v3
	v_cndmask_b32_e64 v3, 0, 1, vcc
	v_add_u32_e32 v4, 0xfffffc10, v4
	v_or_b32_e32 v3, v11, v3
	v_lshl_or_b32 v9, v4, 12, v1
	v_cmp_gt_i32_e32 vcc, 1, v4
	v_cndmask_b32_e32 v3, v9, v3, vcc
	v_and_b32_e32 v9, 7, v3
	v_cmp_lt_i32_e32 vcc, 5, v9
	v_cmp_eq_u32_e64 s[2:3], 3, v9
	v_lshrrev_b32_e32 v3, 2, v3
	s_or_b64 vcc, s[2:3], vcc
	v_addc_co_u32_e32 v3, vcc, 0, v3, vcc
	v_cmp_gt_i32_e32 vcc, 31, v4
	v_cndmask_b32_e32 v3, v8, v3, vcc
	v_cmp_ne_u32_e32 vcc, 0, v1
	v_cndmask_b32_e64 v1, 0, 1, vcc
	v_lshl_or_b32 v1, v1, 9, v8
	v_cmp_eq_u32_e32 vcc, s17, v4
	v_mad_u64_u32 v[11:12], s[2:3], s8, v0, 0
	v_cndmask_b32_e32 v9, v3, v1, vcc
	ds_read2st64_b32 v[3:4], v55 offset0:36 offset1:44
	v_mov_b32_e32 v1, v12
	v_mad_u64_u32 v[0:1], s[2:3], s9, v0, v[1:2]
	v_lshrrev_b32_e32 v10, 16, v10
	s_waitcnt lgkmcnt(0)
	v_lshrrev_b32_e32 v13, 16, v3
	v_mul_f16_sdwa v1, v71, v13 dst_sel:DWORD dst_unused:UNUSED_PAD src0_sel:WORD_1 src1_sel:DWORD
	v_fma_f16 v1, v71, v3, v1
	v_cvt_f32_f16_e32 v1, v1
	v_mov_b32_e32 v12, v0
	v_and_or_b32 v9, v10, s18, v9
	v_and_b32_e32 v7, 0xffff, v7
	v_cvt_f64_f32_e32 v[0:1], v1
	v_lshl_or_b32 v7, v9, 16, v7
	v_mov_b32_e32 v9, s13
	v_add_co_u32_e32 v10, vcc, s12, v5
	v_mul_f64 v[0:1], v[0:1], s[14:15]
	v_addc_co_u32_e32 v9, vcc, v9, v6, vcc
	v_lshlrev_b64 v[5:6], 2, v[11:12]
	v_mul_f16_sdwa v3, v71, v3 dst_sel:DWORD dst_unused:UNUSED_PAD src0_sel:WORD_1 src1_sel:DWORD
	v_add_co_u32_e32 v5, vcc, v10, v5
	v_addc_co_u32_e32 v6, vcc, v9, v6, vcc
	v_and_or_b32 v0, v1, s19, v0
	v_cmp_ne_u32_e32 vcc, 0, v0
	global_store_dword v[5:6], v7, off
	v_cndmask_b32_e64 v0, 0, 1, vcc
	v_lshrrev_b32_e32 v7, 8, v1
	v_bfe_u32 v9, v1, 20, 11
	v_and_or_b32 v0, v7, s16, v0
	v_sub_u32_e32 v10, 0x3f1, v9
	v_or_b32_e32 v7, 0x1000, v0
	v_med3_i32 v10, v10, 0, 13
	v_lshrrev_b32_e32 v11, v10, v7
	v_lshlrev_b32_e32 v10, v10, v11
	v_cmp_ne_u32_e32 vcc, v10, v7
	v_cndmask_b32_e64 v7, 0, 1, vcc
	v_fma_f16 v3, v71, v13, -v3
	v_or_b32_e32 v7, v11, v7
	v_add_u32_e32 v11, 0xfffffc10, v9
	v_cvt_f32_f16_e32 v3, v3
	v_lshl_or_b32 v9, v11, 12, v0
	v_cmp_gt_i32_e32 vcc, 1, v11
	v_cndmask_b32_e32 v7, v9, v7, vcc
	v_and_b32_e32 v9, 7, v7
	v_cmp_lt_i32_e32 vcc, 5, v9
	v_cmp_eq_u32_e64 s[2:3], 3, v9
	v_cvt_f64_f32_e32 v[9:10], v3
	v_lshrrev_b32_e32 v7, 2, v7
	s_or_b64 vcc, s[2:3], vcc
	v_addc_co_u32_e32 v3, vcc, 0, v7, vcc
	v_mul_f64 v[9:10], v[9:10], s[14:15]
	v_cmp_gt_i32_e32 vcc, 31, v11
	v_cndmask_b32_e32 v3, v8, v3, vcc
	v_cmp_ne_u32_e32 vcc, 0, v0
	v_cndmask_b32_e64 v0, 0, 1, vcc
	v_lshl_or_b32 v0, v0, 9, v8
	v_cmp_eq_u32_e32 vcc, s17, v11
	v_cndmask_b32_e32 v0, v3, v0, vcc
	v_lshrrev_b32_e32 v1, 16, v1
	v_and_or_b32 v3, v1, s18, v0
	v_and_or_b32 v0, v10, s19, v9
	v_cmp_ne_u32_e32 vcc, 0, v0
	v_cndmask_b32_e64 v0, 0, 1, vcc
	v_lshrrev_b32_e32 v1, 8, v10
	v_bfe_u32 v7, v10, 20, 11
	v_and_or_b32 v0, v1, s16, v0
	v_sub_u32_e32 v9, 0x3f1, v7
	v_or_b32_e32 v1, 0x1000, v0
	v_med3_i32 v9, v9, 0, 13
	v_lshrrev_b32_e32 v11, v9, v1
	v_lshlrev_b32_e32 v9, v9, v11
	v_cmp_ne_u32_e32 vcc, v9, v1
	v_cndmask_b32_e64 v1, 0, 1, vcc
	v_add_u32_e32 v7, 0xfffffc10, v7
	v_or_b32_e32 v1, v11, v1
	v_lshl_or_b32 v9, v7, 12, v0
	v_cmp_gt_i32_e32 vcc, 1, v7
	v_cndmask_b32_e32 v1, v9, v1, vcc
	v_and_b32_e32 v9, 7, v1
	v_cmp_lt_i32_e32 vcc, 5, v9
	v_cmp_eq_u32_e64 s[2:3], 3, v9
	v_lshrrev_b32_e32 v1, 2, v1
	s_or_b64 vcc, s[2:3], vcc
	v_addc_co_u32_e32 v1, vcc, 0, v1, vcc
	v_cmp_gt_i32_e32 vcc, 31, v7
	v_cndmask_b32_e32 v9, v8, v1, vcc
	v_cmp_ne_u32_e32 vcc, 0, v0
	v_cndmask_b32_e64 v0, 0, 1, vcc
	v_lshl_or_b32 v11, v0, 9, v8
	ds_read2st64_b32 v[0:1], v55 offset0:72 offset1:80
	v_cmp_eq_u32_e32 vcc, s17, v7
	v_cndmask_b32_e32 v7, v9, v11, vcc
	v_lshrrev_b32_e32 v9, 16, v10
	v_and_or_b32 v7, v9, s18, v7
	s_waitcnt lgkmcnt(0)
	v_lshrrev_b32_e32 v14, 16, v0
	v_mul_f16_sdwa v9, v70, v14 dst_sel:DWORD dst_unused:UNUSED_PAD src0_sel:WORD_1 src1_sel:DWORD
	v_fma_f16 v9, v70, v0, v9
	v_cvt_f32_f16_e32 v9, v9
	s_mul_i32 s2, s9, 0x900
	s_mul_hi_u32 s3, s8, 0x900
	s_add_i32 s3, s3, s2
	v_cvt_f64_f32_e32 v[9:10], v9
	s_mul_i32 s2, s8, 0x900
	s_lshl_b64 s[10:11], s[2:3], 2
	v_and_b32_e32 v3, 0xffff, v3
	v_mul_f64 v[10:11], v[9:10], s[14:15]
	v_mov_b32_e32 v9, s11
	v_add_co_u32_e32 v12, vcc, s10, v5
	v_lshl_or_b32 v3, v7, 16, v3
	v_addc_co_u32_e32 v13, vcc, v6, v9, vcc
	global_store_dword v[12:13], v3, off
	v_and_or_b32 v3, v11, s19, v10
	v_cmp_ne_u32_e32 vcc, 0, v3
	v_cndmask_b32_e64 v3, 0, 1, vcc
	v_lshrrev_b32_e32 v5, 8, v11
	v_bfe_u32 v6, v11, 20, 11
	v_and_or_b32 v3, v5, s16, v3
	v_sub_u32_e32 v7, 0x3f1, v6
	v_or_b32_e32 v5, 0x1000, v3
	v_med3_i32 v7, v7, 0, 13
	v_lshrrev_b32_e32 v10, v7, v5
	v_lshlrev_b32_e32 v7, v7, v10
	v_cmp_ne_u32_e32 vcc, v7, v5
	v_mul_f16_sdwa v0, v70, v0 dst_sel:DWORD dst_unused:UNUSED_PAD src0_sel:WORD_1 src1_sel:DWORD
	v_cndmask_b32_e64 v5, 0, 1, vcc
	v_fma_f16 v0, v70, v14, -v0
	v_or_b32_e32 v5, v10, v5
	v_add_u32_e32 v10, 0xfffffc10, v6
	v_cvt_f32_f16_e32 v0, v0
	v_lshl_or_b32 v6, v10, 12, v3
	v_cmp_gt_i32_e32 vcc, 1, v10
	v_cndmask_b32_e32 v5, v6, v5, vcc
	v_and_b32_e32 v6, 7, v5
	v_cmp_lt_i32_e32 vcc, 5, v6
	v_cmp_eq_u32_e64 s[2:3], 3, v6
	v_lshrrev_b32_e32 v7, 2, v5
	v_cvt_f64_f32_e32 v[5:6], v0
	s_or_b64 vcc, s[2:3], vcc
	v_addc_co_u32_e32 v0, vcc, 0, v7, vcc
	v_mul_f64 v[6:7], v[5:6], s[14:15]
	v_cmp_gt_i32_e32 vcc, 31, v10
	v_cndmask_b32_e32 v0, v8, v0, vcc
	v_cmp_ne_u32_e32 vcc, 0, v3
	v_cndmask_b32_e64 v3, 0, 1, vcc
	v_lshl_or_b32 v3, v3, 9, v8
	v_cmp_eq_u32_e32 vcc, s17, v10
	v_cndmask_b32_e32 v0, v0, v3, vcc
	v_lshrrev_b32_e32 v3, 16, v11
	v_and_or_b32 v0, v3, s18, v0
	v_and_or_b32 v3, v7, s19, v6
	v_cmp_ne_u32_e32 vcc, 0, v3
	v_cndmask_b32_e64 v3, 0, 1, vcc
	v_lshrrev_b32_e32 v5, 8, v7
	v_bfe_u32 v6, v7, 20, 11
	v_and_or_b32 v3, v5, s16, v3
	v_sub_u32_e32 v10, 0x3f1, v6
	v_or_b32_e32 v5, 0x1000, v3
	v_med3_i32 v10, v10, 0, 13
	v_lshrrev_b32_e32 v11, v10, v5
	v_lshlrev_b32_e32 v10, v10, v11
	v_cmp_ne_u32_e32 vcc, v10, v5
	v_cndmask_b32_e64 v5, 0, 1, vcc
	v_add_u32_e32 v14, 0xfffffc10, v6
	v_or_b32_e32 v5, v11, v5
	v_lshl_or_b32 v6, v14, 12, v3
	v_cmp_gt_i32_e32 vcc, 1, v14
	v_cndmask_b32_e32 v5, v6, v5, vcc
	v_and_b32_e32 v6, 7, v5
	v_cmp_lt_i32_e32 vcc, 5, v6
	v_cmp_eq_u32_e64 s[2:3], 3, v6
	v_lshrrev_b32_e32 v10, 2, v5
	ds_read2st64_b32 v[5:6], v55 offset0:108 offset1:116
	s_or_b64 vcc, s[2:3], vcc
	v_addc_co_u32_e32 v10, vcc, 0, v10, vcc
	v_cmp_gt_i32_e32 vcc, 31, v14
	s_waitcnt lgkmcnt(0)
	v_lshrrev_b32_e32 v16, 16, v5
	v_cndmask_b32_e32 v15, v8, v10, vcc
	v_mul_f16_sdwa v10, v69, v16 dst_sel:DWORD dst_unused:UNUSED_PAD src0_sel:WORD_1 src1_sel:DWORD
	v_fma_f16 v10, v69, v5, v10
	v_cvt_f32_f16_e32 v10, v10
	v_cmp_ne_u32_e32 vcc, 0, v3
	v_cndmask_b32_e64 v3, 0, 1, vcc
	v_lshl_or_b32 v3, v3, 9, v8
	v_cvt_f64_f32_e32 v[10:11], v10
	v_cmp_eq_u32_e32 vcc, s17, v14
	v_cndmask_b32_e32 v3, v15, v3, vcc
	v_lshrrev_b32_e32 v7, 16, v7
	v_mul_f64 v[10:11], v[10:11], s[14:15]
	v_and_or_b32 v3, v7, s18, v3
	v_and_b32_e32 v0, 0xffff, v0
	v_add_co_u32_e32 v12, vcc, s10, v12
	v_lshl_or_b32 v0, v3, 16, v0
	v_addc_co_u32_e32 v13, vcc, v13, v9, vcc
	global_store_dword v[12:13], v0, off
	v_and_or_b32 v0, v11, s19, v10
	v_cmp_ne_u32_e32 vcc, 0, v0
	v_cndmask_b32_e64 v0, 0, 1, vcc
	v_lshrrev_b32_e32 v3, 8, v11
	v_bfe_u32 v7, v11, 20, 11
	v_and_or_b32 v0, v3, s16, v0
	v_sub_u32_e32 v10, 0x3f1, v7
	v_mul_f16_sdwa v5, v69, v5 dst_sel:DWORD dst_unused:UNUSED_PAD src0_sel:WORD_1 src1_sel:DWORD
	v_or_b32_e32 v3, 0x1000, v0
	v_med3_i32 v10, v10, 0, 13
	v_fma_f16 v5, v69, v16, -v5
	v_lshrrev_b32_e32 v14, v10, v3
	v_cvt_f32_f16_e32 v5, v5
	v_lshlrev_b32_e32 v10, v10, v14
	v_cmp_ne_u32_e32 vcc, v10, v3
	v_cndmask_b32_e64 v3, 0, 1, vcc
	v_or_b32_e32 v3, v14, v3
	v_add_u32_e32 v7, 0xfffffc10, v7
	v_cvt_f64_f32_e32 v[14:15], v5
	v_lshl_or_b32 v10, v7, 12, v0
	v_cmp_gt_i32_e32 vcc, 1, v7
	v_cndmask_b32_e32 v3, v10, v3, vcc
	v_and_b32_e32 v10, 7, v3
	v_cmp_lt_i32_e32 vcc, 5, v10
	v_cmp_eq_u32_e64 s[2:3], 3, v10
	v_mul_f64 v[14:15], v[14:15], s[14:15]
	v_lshrrev_b32_e32 v3, 2, v3
	s_or_b64 vcc, s[2:3], vcc
	v_addc_co_u32_e32 v3, vcc, 0, v3, vcc
	v_cmp_gt_i32_e32 vcc, 31, v7
	v_cndmask_b32_e32 v3, v8, v3, vcc
	v_cmp_ne_u32_e32 vcc, 0, v0
	v_cndmask_b32_e64 v0, 0, 1, vcc
	v_lshl_or_b32 v0, v0, 9, v8
	v_cmp_eq_u32_e32 vcc, s17, v7
	v_cndmask_b32_e32 v0, v3, v0, vcc
	v_lshrrev_b32_e32 v3, 16, v11
	v_and_or_b32 v0, v3, s18, v0
	v_and_or_b32 v3, v15, s19, v14
	v_cmp_ne_u32_e32 vcc, 0, v3
	v_cndmask_b32_e64 v3, 0, 1, vcc
	v_lshrrev_b32_e32 v5, 8, v15
	v_bfe_u32 v7, v15, 20, 11
	v_and_or_b32 v3, v5, s16, v3
	v_sub_u32_e32 v10, 0x3f1, v7
	v_or_b32_e32 v5, 0x1000, v3
	v_med3_i32 v10, v10, 0, 13
	v_lshrrev_b32_e32 v11, v10, v5
	v_lshlrev_b32_e32 v10, v10, v11
	v_cmp_ne_u32_e32 vcc, v10, v5
	v_cndmask_b32_e64 v5, 0, 1, vcc
	v_add_u32_e32 v7, 0xfffffc10, v7
	v_or_b32_e32 v5, v11, v5
	v_lshl_or_b32 v10, v7, 12, v3
	v_cmp_gt_i32_e32 vcc, 1, v7
	v_cndmask_b32_e32 v5, v10, v5, vcc
	v_and_b32_e32 v10, 7, v5
	v_lshrrev_b32_e32 v14, 16, v2
	v_cmp_lt_i32_e32 vcc, 5, v10
	v_cmp_eq_u32_e64 s[2:3], 3, v10
	v_mul_f16_sdwa v10, v68, v14 dst_sel:DWORD dst_unused:UNUSED_PAD src0_sel:WORD_1 src1_sel:DWORD
	v_fma_f16 v10, v68, v2, v10
	v_cvt_f32_f16_e32 v10, v10
	v_lshrrev_b32_e32 v5, 2, v5
	s_or_b64 vcc, s[2:3], vcc
	v_addc_co_u32_e32 v5, vcc, 0, v5, vcc
	v_cvt_f64_f32_e32 v[10:11], v10
	v_cmp_gt_i32_e32 vcc, 31, v7
	v_cndmask_b32_e32 v5, v8, v5, vcc
	v_cmp_ne_u32_e32 vcc, 0, v3
	v_mul_f64 v[10:11], v[10:11], s[14:15]
	v_cndmask_b32_e64 v3, 0, 1, vcc
	v_lshl_or_b32 v3, v3, 9, v8
	v_cmp_eq_u32_e32 vcc, s17, v7
	v_cndmask_b32_e32 v3, v5, v3, vcc
	v_lshrrev_b32_e32 v5, 16, v15
	v_and_or_b32 v3, v5, s18, v3
	v_and_b32_e32 v0, 0xffff, v0
	v_add_co_u32_e32 v12, vcc, s10, v12
	v_lshl_or_b32 v0, v3, 16, v0
	v_addc_co_u32_e32 v13, vcc, v13, v9, vcc
	global_store_dword v[12:13], v0, off
	v_and_or_b32 v0, v11, s19, v10
	v_cmp_ne_u32_e32 vcc, 0, v0
	v_cndmask_b32_e64 v0, 0, 1, vcc
	v_lshrrev_b32_e32 v3, 8, v11
	v_bfe_u32 v5, v11, 20, 11
	v_and_or_b32 v0, v3, s16, v0
	v_sub_u32_e32 v7, 0x3f1, v5
	v_or_b32_e32 v3, 0x1000, v0
	v_med3_i32 v7, v7, 0, 13
	v_lshrrev_b32_e32 v10, v7, v3
	v_lshlrev_b32_e32 v7, v7, v10
	v_mul_f16_sdwa v2, v68, v2 dst_sel:DWORD dst_unused:UNUSED_PAD src0_sel:WORD_1 src1_sel:DWORD
	v_cmp_ne_u32_e32 vcc, v7, v3
	v_fma_f16 v2, v68, v14, -v2
	v_cndmask_b32_e64 v3, 0, 1, vcc
	v_add_u32_e32 v5, 0xfffffc10, v5
	v_cvt_f32_f16_e32 v2, v2
	v_or_b32_e32 v3, v10, v3
	v_lshl_or_b32 v7, v5, 12, v0
	v_cmp_gt_i32_e32 vcc, 1, v5
	v_cndmask_b32_e32 v3, v7, v3, vcc
	v_and_b32_e32 v7, 7, v3
	v_cmp_lt_i32_e32 vcc, 5, v7
	v_cmp_eq_u32_e64 s[2:3], 3, v7
	v_lshrrev_b32_e32 v7, 2, v3
	v_cvt_f64_f32_e32 v[2:3], v2
	s_or_b64 vcc, s[2:3], vcc
	v_addc_co_u32_e32 v7, vcc, 0, v7, vcc
	v_mul_f64 v[2:3], v[2:3], s[14:15]
	v_cmp_gt_i32_e32 vcc, 31, v5
	v_cndmask_b32_e32 v7, v8, v7, vcc
	v_cmp_ne_u32_e32 vcc, 0, v0
	v_cndmask_b32_e64 v0, 0, 1, vcc
	v_lshl_or_b32 v0, v0, 9, v8
	v_cmp_eq_u32_e32 vcc, s17, v5
	v_cndmask_b32_e32 v0, v7, v0, vcc
	v_and_or_b32 v2, v3, s19, v2
	v_lshrrev_b32_e32 v5, 16, v11
	v_cmp_ne_u32_e32 vcc, 0, v2
	v_and_or_b32 v0, v5, s18, v0
	v_cndmask_b32_e64 v2, 0, 1, vcc
	v_lshrrev_b32_e32 v5, 8, v3
	v_bfe_u32 v7, v3, 20, 11
	v_and_or_b32 v2, v5, s16, v2
	v_sub_u32_e32 v10, 0x3f1, v7
	v_or_b32_e32 v5, 0x1000, v2
	v_med3_i32 v10, v10, 0, 13
	v_lshrrev_b32_e32 v11, v10, v5
	v_lshlrev_b32_e32 v10, v10, v11
	v_cmp_ne_u32_e32 vcc, v10, v5
	v_cndmask_b32_e64 v5, 0, 1, vcc
	v_add_u32_e32 v7, 0xfffffc10, v7
	v_or_b32_e32 v5, v11, v5
	v_lshl_or_b32 v10, v7, 12, v2
	v_cmp_gt_i32_e32 vcc, 1, v7
	v_cndmask_b32_e32 v5, v10, v5, vcc
	v_and_b32_e32 v10, 7, v5
	v_cmp_lt_i32_e32 vcc, 5, v10
	v_cmp_eq_u32_e64 s[2:3], 3, v10
	v_lshrrev_b32_e32 v5, 2, v5
	s_or_b64 vcc, s[2:3], vcc
	v_addc_co_u32_e32 v5, vcc, 0, v5, vcc
	v_cmp_gt_i32_e32 vcc, 31, v7
	v_cndmask_b32_e32 v5, v8, v5, vcc
	v_cmp_ne_u32_e32 vcc, 0, v2
	v_cndmask_b32_e64 v2, 0, 1, vcc
	v_lshl_or_b32 v2, v2, 9, v8
	v_cmp_eq_u32_e32 vcc, s17, v7
	v_cndmask_b32_e32 v2, v5, v2, vcc
	v_lshrrev_b32_e32 v3, 16, v3
	v_lshrrev_b32_e32 v7, 16, v4
	v_and_or_b32 v5, v3, s18, v2
	v_mul_f16_sdwa v2, v67, v7 dst_sel:DWORD dst_unused:UNUSED_PAD src0_sel:WORD_1 src1_sel:DWORD
	v_fma_f16 v2, v67, v4, v2
	v_cvt_f32_f16_e32 v2, v2
	s_mul_hi_u32 s3, s8, 0xffffe700
	s_mul_i32 s2, s9, 0xffffe700
	s_sub_i32 s3, s3, s8
	v_cvt_f64_f32_e32 v[2:3], v2
	s_add_i32 s3, s3, s2
	s_mul_i32 s2, s8, 0xffffe700
	s_lshl_b64 s[4:5], s[2:3], 2
	v_mul_f64 v[2:3], v[2:3], s[14:15]
	v_and_b32_e32 v0, 0xffff, v0
	v_mov_b32_e32 v10, s5
	v_add_co_u32_e32 v11, vcc, s4, v12
	v_lshl_or_b32 v0, v5, 16, v0
	v_addc_co_u32_e32 v12, vcc, v13, v10, vcc
	global_store_dword v[11:12], v0, off
	v_and_or_b32 v0, v3, s19, v2
	v_cmp_ne_u32_e32 vcc, 0, v0
	v_cndmask_b32_e64 v0, 0, 1, vcc
	v_lshrrev_b32_e32 v2, 8, v3
	v_bfe_u32 v5, v3, 20, 11
	v_and_or_b32 v0, v2, s16, v0
	v_sub_u32_e32 v13, 0x3f1, v5
	v_or_b32_e32 v2, 0x1000, v0
	v_med3_i32 v13, v13, 0, 13
	v_lshrrev_b32_e32 v14, v13, v2
	v_lshlrev_b32_e32 v13, v13, v14
	v_mul_f16_sdwa v4, v67, v4 dst_sel:DWORD dst_unused:UNUSED_PAD src0_sel:WORD_1 src1_sel:DWORD
	v_cmp_ne_u32_e32 vcc, v13, v2
	v_fma_f16 v4, v67, v7, -v4
	v_cndmask_b32_e64 v2, 0, 1, vcc
	v_add_u32_e32 v13, 0xfffffc10, v5
	v_cvt_f32_f16_e32 v4, v4
	v_or_b32_e32 v2, v14, v2
	v_lshl_or_b32 v5, v13, 12, v0
	v_cmp_gt_i32_e32 vcc, 1, v13
	v_cndmask_b32_e32 v2, v5, v2, vcc
	v_and_b32_e32 v5, 7, v2
	v_cmp_lt_i32_e32 vcc, 5, v5
	v_cmp_eq_u32_e64 s[2:3], 3, v5
	v_cvt_f64_f32_e32 v[4:5], v4
	v_lshrrev_b32_e32 v2, 2, v2
	s_or_b64 vcc, s[2:3], vcc
	v_addc_co_u32_e32 v2, vcc, 0, v2, vcc
	v_mul_f64 v[4:5], v[4:5], s[14:15]
	v_cmp_gt_i32_e32 vcc, 31, v13
	v_cndmask_b32_e32 v2, v8, v2, vcc
	v_cmp_ne_u32_e32 vcc, 0, v0
	v_cndmask_b32_e64 v0, 0, 1, vcc
	v_lshl_or_b32 v0, v0, 9, v8
	v_cmp_eq_u32_e32 vcc, s17, v13
	v_cndmask_b32_e32 v0, v2, v0, vcc
	v_lshrrev_b32_e32 v2, 16, v3
	v_and_or_b32 v0, v2, s18, v0
	v_and_or_b32 v2, v5, s19, v4
	v_cmp_ne_u32_e32 vcc, 0, v2
	v_cndmask_b32_e64 v2, 0, 1, vcc
	v_lshrrev_b32_e32 v3, 8, v5
	v_bfe_u32 v4, v5, 20, 11
	v_and_or_b32 v2, v3, s16, v2
	v_sub_u32_e32 v7, 0x3f1, v4
	v_or_b32_e32 v3, 0x1000, v2
	v_med3_i32 v7, v7, 0, 13
	v_lshrrev_b32_e32 v13, v7, v3
	v_lshlrev_b32_e32 v7, v7, v13
	v_cmp_ne_u32_e32 vcc, v7, v3
	v_cndmask_b32_e64 v3, 0, 1, vcc
	v_add_u32_e32 v4, 0xfffffc10, v4
	v_or_b32_e32 v3, v13, v3
	v_lshl_or_b32 v7, v4, 12, v2
	v_cmp_gt_i32_e32 vcc, 1, v4
	v_cndmask_b32_e32 v3, v7, v3, vcc
	v_and_b32_e32 v7, 7, v3
	v_cmp_lt_i32_e32 vcc, 5, v7
	v_cmp_eq_u32_e64 s[2:3], 3, v7
	v_lshrrev_b32_e32 v3, 2, v3
	s_or_b64 vcc, s[2:3], vcc
	v_addc_co_u32_e32 v3, vcc, 0, v3, vcc
	v_cmp_gt_i32_e32 vcc, 31, v4
	v_lshrrev_b32_e32 v13, 16, v1
	v_cndmask_b32_e32 v7, v8, v3, vcc
	v_mul_f16_sdwa v3, v66, v13 dst_sel:DWORD dst_unused:UNUSED_PAD src0_sel:WORD_1 src1_sel:DWORD
	v_fma_f16 v3, v66, v1, v3
	v_cvt_f32_f16_e32 v3, v3
	v_cmp_ne_u32_e32 vcc, 0, v2
	v_cndmask_b32_e64 v2, 0, 1, vcc
	v_lshl_or_b32 v14, v2, 9, v8
	v_cvt_f64_f32_e32 v[2:3], v3
	v_cmp_eq_u32_e32 vcc, s17, v4
	v_cndmask_b32_e32 v4, v7, v14, vcc
	v_lshrrev_b32_e32 v5, 16, v5
	v_mul_f64 v[2:3], v[2:3], s[14:15]
	v_and_or_b32 v4, v5, s18, v4
	v_and_b32_e32 v0, 0xffff, v0
	v_lshl_or_b32 v0, v4, 16, v0
	v_add_co_u32_e32 v4, vcc, s10, v11
	v_addc_co_u32_e32 v5, vcc, v12, v9, vcc
	global_store_dword v[4:5], v0, off
	v_and_or_b32 v0, v3, s19, v2
	v_cmp_ne_u32_e32 vcc, 0, v0
	v_cndmask_b32_e64 v0, 0, 1, vcc
	v_lshrrev_b32_e32 v2, 8, v3
	v_bfe_u32 v7, v3, 20, 11
	v_and_or_b32 v2, v2, s16, v0
	v_sub_u32_e32 v11, 0x3f1, v7
	v_or_b32_e32 v0, 0x1000, v2
	v_med3_i32 v11, v11, 0, 13
	v_lshrrev_b32_e32 v12, v11, v0
	v_lshlrev_b32_e32 v11, v11, v12
	v_mul_f16_sdwa v1, v66, v1 dst_sel:DWORD dst_unused:UNUSED_PAD src0_sel:WORD_1 src1_sel:DWORD
	v_cmp_ne_u32_e32 vcc, v11, v0
	v_fma_f16 v1, v66, v13, -v1
	v_cndmask_b32_e64 v0, 0, 1, vcc
	v_add_u32_e32 v7, 0xfffffc10, v7
	v_cvt_f32_f16_e32 v1, v1
	v_or_b32_e32 v0, v12, v0
	v_lshl_or_b32 v11, v7, 12, v2
	v_cmp_gt_i32_e32 vcc, 1, v7
	v_cndmask_b32_e32 v0, v11, v0, vcc
	v_and_b32_e32 v11, 7, v0
	v_cmp_lt_i32_e32 vcc, 5, v11
	v_cmp_eq_u32_e64 s[2:3], 3, v11
	v_lshrrev_b32_e32 v11, 2, v0
	v_cvt_f64_f32_e32 v[0:1], v1
	s_or_b64 vcc, s[2:3], vcc
	v_addc_co_u32_e32 v11, vcc, 0, v11, vcc
	v_mul_f64 v[0:1], v[0:1], s[14:15]
	v_cmp_gt_i32_e32 vcc, 31, v7
	v_cndmask_b32_e32 v11, v8, v11, vcc
	v_cmp_ne_u32_e32 vcc, 0, v2
	v_cndmask_b32_e64 v2, 0, 1, vcc
	v_lshl_or_b32 v2, v2, 9, v8
	v_cmp_eq_u32_e32 vcc, s17, v7
	v_cndmask_b32_e32 v2, v11, v2, vcc
	v_and_or_b32 v0, v1, s19, v0
	v_lshrrev_b32_e32 v3, 16, v3
	v_cmp_ne_u32_e32 vcc, 0, v0
	v_and_or_b32 v7, v3, s18, v2
	v_cndmask_b32_e64 v0, 0, 1, vcc
	v_lshrrev_b32_e32 v2, 8, v1
	v_bfe_u32 v3, v1, 20, 11
	v_and_or_b32 v0, v2, s16, v0
	v_sub_u32_e32 v11, 0x3f1, v3
	v_or_b32_e32 v2, 0x1000, v0
	v_med3_i32 v11, v11, 0, 13
	v_lshrrev_b32_e32 v12, v11, v2
	v_lshlrev_b32_e32 v11, v11, v12
	v_cmp_ne_u32_e32 vcc, v11, v2
	v_cndmask_b32_e64 v2, 0, 1, vcc
	v_add_u32_e32 v11, 0xfffffc10, v3
	v_or_b32_e32 v2, v12, v2
	v_lshl_or_b32 v3, v11, 12, v0
	v_cmp_gt_i32_e32 vcc, 1, v11
	v_cndmask_b32_e32 v2, v3, v2, vcc
	v_and_b32_e32 v3, 7, v2
	v_cmp_lt_i32_e32 vcc, 5, v3
	v_cmp_eq_u32_e64 s[2:3], 3, v3
	v_lshrrev_b32_e32 v2, 2, v2
	s_or_b64 vcc, s[2:3], vcc
	v_addc_co_u32_e32 v2, vcc, 0, v2, vcc
	v_cmp_gt_i32_e32 vcc, 31, v11
	v_lshrrev_b32_e32 v13, 16, v6
	v_cndmask_b32_e32 v12, v8, v2, vcc
	v_mul_f16_sdwa v2, v65, v13 dst_sel:DWORD dst_unused:UNUSED_PAD src0_sel:WORD_1 src1_sel:DWORD
	v_fma_f16 v2, v65, v6, v2
	v_cvt_f32_f16_e32 v2, v2
	v_cmp_ne_u32_e32 vcc, 0, v0
	v_cndmask_b32_e64 v0, 0, 1, vcc
	v_lshl_or_b32 v0, v0, 9, v8
	v_cvt_f64_f32_e32 v[2:3], v2
	v_cmp_eq_u32_e32 vcc, s17, v11
	v_cndmask_b32_e32 v0, v12, v0, vcc
	v_lshrrev_b32_e32 v1, 16, v1
	v_and_or_b32 v11, v1, s18, v0
	v_mul_f64 v[0:1], v[2:3], s[14:15]
	v_and_b32_e32 v2, 0xffff, v7
	v_lshl_or_b32 v7, v11, 16, v2
	v_add_co_u32_e32 v2, vcc, s10, v4
	v_addc_co_u32_e32 v3, vcc, v5, v9, vcc
	global_store_dword v[2:3], v7, off
	v_and_or_b32 v0, v1, s19, v0
	v_cmp_ne_u32_e32 vcc, 0, v0
	v_cndmask_b32_e64 v0, 0, 1, vcc
	v_lshrrev_b32_e32 v4, 8, v1
	v_bfe_u32 v5, v1, 20, 11
	v_and_or_b32 v0, v4, s16, v0
	v_sub_u32_e32 v7, 0x3f1, v5
	v_or_b32_e32 v4, 0x1000, v0
	v_med3_i32 v7, v7, 0, 13
	v_lshrrev_b32_e32 v11, v7, v4
	v_lshlrev_b32_e32 v7, v7, v11
	v_mul_f16_sdwa v6, v65, v6 dst_sel:DWORD dst_unused:UNUSED_PAD src0_sel:WORD_1 src1_sel:DWORD
	v_cmp_ne_u32_e32 vcc, v7, v4
	v_fma_f16 v6, v65, v13, -v6
	v_cndmask_b32_e64 v4, 0, 1, vcc
	v_add_u32_e32 v7, 0xfffffc10, v5
	v_cvt_f32_f16_e32 v6, v6
	v_or_b32_e32 v4, v11, v4
	v_lshl_or_b32 v5, v7, 12, v0
	v_cmp_gt_i32_e32 vcc, 1, v7
	v_cndmask_b32_e32 v4, v5, v4, vcc
	v_and_b32_e32 v5, 7, v4
	v_cmp_lt_i32_e32 vcc, 5, v5
	v_cmp_eq_u32_e64 s[2:3], 3, v5
	v_lshrrev_b32_e32 v11, 2, v4
	v_cvt_f64_f32_e32 v[4:5], v6
	s_or_b64 vcc, s[2:3], vcc
	v_addc_co_u32_e32 v6, vcc, 0, v11, vcc
	v_mul_f64 v[4:5], v[4:5], s[14:15]
	v_cmp_gt_i32_e32 vcc, 31, v7
	v_cndmask_b32_e32 v6, v8, v6, vcc
	v_cmp_ne_u32_e32 vcc, 0, v0
	v_cndmask_b32_e64 v0, 0, 1, vcc
	v_lshl_or_b32 v0, v0, 9, v8
	v_cmp_eq_u32_e32 vcc, s17, v7
	v_cndmask_b32_e32 v0, v6, v0, vcc
	v_lshrrev_b32_e32 v1, 16, v1
	v_and_or_b32 v11, v1, s18, v0
	v_and_or_b32 v0, v5, s19, v4
	v_cmp_ne_u32_e32 vcc, 0, v0
	v_cndmask_b32_e64 v0, 0, 1, vcc
	v_lshrrev_b32_e32 v1, 8, v5
	v_and_or_b32 v4, v1, s16, v0
	v_bfe_u32 v1, v5, 20, 11
	v_sub_u32_e32 v6, 0x3f1, v1
	v_or_b32_e32 v0, 0x1000, v4
	v_med3_i32 v6, v6, 0, 13
	v_lshrrev_b32_e32 v7, v6, v0
	v_lshlrev_b32_e32 v6, v6, v7
	v_cmp_ne_u32_e32 vcc, v6, v0
	v_cndmask_b32_e64 v0, 0, 1, vcc
	v_add_u32_e32 v12, 0xfffffc10, v1
	v_or_b32_e32 v0, v7, v0
	v_lshl_or_b32 v1, v12, 12, v4
	v_cmp_gt_i32_e32 vcc, 1, v12
	v_cndmask_b32_e32 v0, v1, v0, vcc
	v_and_b32_e32 v1, 7, v0
	v_cmp_lt_i32_e32 vcc, 5, v1
	v_cmp_eq_u32_e64 s[2:3], 3, v1
	v_lshrrev_b32_e32 v6, 2, v0
	ds_read2st64_b32 v[0:1], v55 offset0:16 offset1:24
	s_or_b64 vcc, s[2:3], vcc
	v_addc_co_u32_e32 v6, vcc, 0, v6, vcc
	v_cmp_gt_i32_e32 vcc, 31, v12
	s_waitcnt lgkmcnt(0)
	v_lshrrev_b32_e32 v14, 16, v0
	v_cndmask_b32_e32 v13, v8, v6, vcc
	v_mul_f16_sdwa v6, v64, v14 dst_sel:DWORD dst_unused:UNUSED_PAD src0_sel:WORD_1 src1_sel:DWORD
	v_fma_f16 v6, v64, v0, v6
	v_cvt_f32_f16_e32 v6, v6
	v_cmp_ne_u32_e32 vcc, 0, v4
	v_cndmask_b32_e64 v4, 0, 1, vcc
	v_lshl_or_b32 v4, v4, 9, v8
	v_cvt_f64_f32_e32 v[6:7], v6
	v_cmp_eq_u32_e32 vcc, s17, v12
	v_cndmask_b32_e32 v4, v13, v4, vcc
	v_lshrrev_b32_e32 v5, 16, v5
	v_and_or_b32 v12, v5, s18, v4
	v_mul_f64 v[4:5], v[6:7], s[14:15]
	v_and_b32_e32 v6, 0xffff, v11
	v_lshl_or_b32 v11, v12, 16, v6
	v_add_co_u32_e32 v6, vcc, s10, v2
	v_addc_co_u32_e32 v7, vcc, v3, v9, vcc
	global_store_dword v[6:7], v11, off
	v_and_or_b32 v2, v5, s19, v4
	v_cmp_ne_u32_e32 vcc, 0, v2
	v_cndmask_b32_e64 v2, 0, 1, vcc
	v_lshrrev_b32_e32 v3, 8, v5
	v_and_or_b32 v11, v3, s16, v2
	v_bfe_u32 v3, v5, 20, 11
	v_sub_u32_e32 v4, 0x3f1, v3
	v_or_b32_e32 v2, 0x1000, v11
	v_med3_i32 v4, v4, 0, 13
	v_lshrrev_b32_e32 v12, v4, v2
	v_lshlrev_b32_e32 v4, v4, v12
	v_cmp_ne_u32_e32 vcc, v4, v2
	v_mul_f16_sdwa v0, v64, v0 dst_sel:DWORD dst_unused:UNUSED_PAD src0_sel:WORD_1 src1_sel:DWORD
	v_cndmask_b32_e64 v2, 0, 1, vcc
	v_fma_f16 v0, v64, v14, -v0
	v_or_b32_e32 v2, v12, v2
	v_add_u32_e32 v12, 0xfffffc10, v3
	v_cvt_f32_f16_e32 v0, v0
	v_lshl_or_b32 v3, v12, 12, v11
	v_cmp_gt_i32_e32 vcc, 1, v12
	v_cndmask_b32_e32 v2, v3, v2, vcc
	v_and_b32_e32 v3, 7, v2
	v_cmp_lt_i32_e32 vcc, 5, v3
	v_cmp_eq_u32_e64 s[2:3], 3, v3
	v_lshrrev_b32_e32 v4, 2, v2
	v_cvt_f64_f32_e32 v[2:3], v0
	s_or_b64 vcc, s[2:3], vcc
	v_addc_co_u32_e32 v0, vcc, 0, v4, vcc
	v_mul_f64 v[3:4], v[2:3], s[14:15]
	v_cmp_gt_i32_e32 vcc, 31, v12
	v_cndmask_b32_e32 v0, v8, v0, vcc
	v_cmp_ne_u32_e32 vcc, 0, v11
	v_cndmask_b32_e64 v2, 0, 1, vcc
	v_lshl_or_b32 v2, v2, 9, v8
	v_cmp_eq_u32_e32 vcc, s17, v12
	v_cndmask_b32_e32 v0, v0, v2, vcc
	v_lshrrev_b32_e32 v2, 16, v5
	v_and_or_b32 v0, v2, s18, v0
	v_and_or_b32 v2, v4, s19, v3
	v_cmp_ne_u32_e32 vcc, 0, v2
	v_cndmask_b32_e64 v2, 0, 1, vcc
	v_lshrrev_b32_e32 v3, 8, v4
	v_and_or_b32 v5, v3, s16, v2
	v_bfe_u32 v3, v4, 20, 11
	v_sub_u32_e32 v11, 0x3f1, v3
	v_or_b32_e32 v2, 0x1000, v5
	v_med3_i32 v11, v11, 0, 13
	v_lshrrev_b32_e32 v12, v11, v2
	v_lshlrev_b32_e32 v11, v11, v12
	v_cmp_ne_u32_e32 vcc, v11, v2
	v_cndmask_b32_e64 v2, 0, 1, vcc
	v_add_u32_e32 v13, 0xfffffc10, v3
	v_or_b32_e32 v2, v12, v2
	v_lshl_or_b32 v3, v13, 12, v5
	v_cmp_gt_i32_e32 vcc, 1, v13
	v_cndmask_b32_e32 v2, v3, v2, vcc
	v_and_b32_e32 v3, 7, v2
	v_cmp_lt_i32_e32 vcc, 5, v3
	v_cmp_eq_u32_e64 s[2:3], 3, v3
	v_lshrrev_b32_e32 v11, 2, v2
	ds_read2st64_b32 v[2:3], v55 offset0:52 offset1:60
	s_or_b64 vcc, s[2:3], vcc
	v_addc_co_u32_e32 v11, vcc, 0, v11, vcc
	v_cmp_gt_i32_e32 vcc, 31, v13
	s_waitcnt lgkmcnt(0)
	v_lshrrev_b32_e32 v15, 16, v2
	v_cndmask_b32_e32 v14, v8, v11, vcc
	v_mul_f16_sdwa v11, v63, v15 dst_sel:DWORD dst_unused:UNUSED_PAD src0_sel:WORD_1 src1_sel:DWORD
	v_fma_f16 v11, v63, v2, v11
	v_cvt_f32_f16_e32 v11, v11
	v_cmp_ne_u32_e32 vcc, 0, v5
	v_cndmask_b32_e64 v5, 0, 1, vcc
	v_lshl_or_b32 v5, v5, 9, v8
	v_cvt_f64_f32_e32 v[11:12], v11
	v_cmp_eq_u32_e32 vcc, s17, v13
	v_cndmask_b32_e32 v5, v14, v5, vcc
	v_lshrrev_b32_e32 v4, 16, v4
	v_and_or_b32 v13, v4, s18, v5
	v_mul_f64 v[4:5], v[11:12], s[14:15]
	v_and_b32_e32 v0, 0xffff, v0
	v_add_co_u32_e32 v6, vcc, s4, v6
	v_lshl_or_b32 v0, v13, 16, v0
	v_addc_co_u32_e32 v7, vcc, v7, v10, vcc
	global_store_dword v[6:7], v0, off
	v_and_or_b32 v0, v5, s19, v4
	v_cmp_ne_u32_e32 vcc, 0, v0
	v_cndmask_b32_e64 v0, 0, 1, vcc
	v_lshrrev_b32_e32 v4, 8, v5
	v_bfe_u32 v11, v5, 20, 11
	v_and_or_b32 v0, v4, s16, v0
	v_sub_u32_e32 v12, 0x3f1, v11
	v_or_b32_e32 v4, 0x1000, v0
	v_med3_i32 v12, v12, 0, 13
	v_lshrrev_b32_e32 v13, v12, v4
	v_lshlrev_b32_e32 v12, v12, v13
	v_cmp_ne_u32_e32 vcc, v12, v4
	v_mul_f16_sdwa v2, v63, v2 dst_sel:DWORD dst_unused:UNUSED_PAD src0_sel:WORD_1 src1_sel:DWORD
	v_cndmask_b32_e64 v4, 0, 1, vcc
	v_fma_f16 v2, v63, v15, -v2
	v_or_b32_e32 v4, v13, v4
	v_add_u32_e32 v13, 0xfffffc10, v11
	v_cvt_f32_f16_e32 v2, v2
	v_lshl_or_b32 v11, v13, 12, v0
	v_cmp_gt_i32_e32 vcc, 1, v13
	v_cndmask_b32_e32 v4, v11, v4, vcc
	v_and_b32_e32 v11, 7, v4
	v_cmp_lt_i32_e32 vcc, 5, v11
	v_cmp_eq_u32_e64 s[2:3], 3, v11
	v_cvt_f64_f32_e32 v[11:12], v2
	v_lshrrev_b32_e32 v4, 2, v4
	s_or_b64 vcc, s[2:3], vcc
	v_addc_co_u32_e32 v2, vcc, 0, v4, vcc
	v_mul_f64 v[11:12], v[11:12], s[14:15]
	v_cmp_gt_i32_e32 vcc, 31, v13
	v_cndmask_b32_e32 v2, v8, v2, vcc
	v_cmp_ne_u32_e32 vcc, 0, v0
	v_cndmask_b32_e64 v0, 0, 1, vcc
	v_lshl_or_b32 v0, v0, 9, v8
	v_cmp_eq_u32_e32 vcc, s17, v13
	v_cndmask_b32_e32 v0, v2, v0, vcc
	v_lshrrev_b32_e32 v2, 16, v5
	v_and_or_b32 v0, v2, s18, v0
	v_and_or_b32 v2, v12, s19, v11
	v_cmp_ne_u32_e32 vcc, 0, v2
	v_cndmask_b32_e64 v2, 0, 1, vcc
	v_lshrrev_b32_e32 v4, 8, v12
	v_bfe_u32 v5, v12, 20, 11
	v_and_or_b32 v2, v4, s16, v2
	v_sub_u32_e32 v11, 0x3f1, v5
	v_or_b32_e32 v4, 0x1000, v2
	v_med3_i32 v11, v11, 0, 13
	v_lshrrev_b32_e32 v13, v11, v4
	v_lshlrev_b32_e32 v11, v11, v13
	v_cmp_ne_u32_e32 vcc, v11, v4
	v_cndmask_b32_e64 v4, 0, 1, vcc
	v_add_u32_e32 v11, 0xfffffc10, v5
	v_or_b32_e32 v4, v13, v4
	v_lshl_or_b32 v5, v11, 12, v2
	v_cmp_gt_i32_e32 vcc, 1, v11
	v_cndmask_b32_e32 v4, v5, v4, vcc
	v_and_b32_e32 v5, 7, v4
	v_cmp_lt_i32_e32 vcc, 5, v5
	v_cmp_eq_u32_e64 s[2:3], 3, v5
	v_lshrrev_b32_e32 v13, 2, v4
	ds_read2st64_b32 v[4:5], v55 offset0:88 offset1:96
	s_or_b64 vcc, s[2:3], vcc
	v_addc_co_u32_e32 v13, vcc, 0, v13, vcc
	v_cmp_gt_i32_e32 vcc, 31, v11
	s_waitcnt lgkmcnt(0)
	v_lshrrev_b32_e32 v16, 16, v4
	v_cndmask_b32_e32 v15, v8, v13, vcc
	v_mul_f16_sdwa v13, v62, v16 dst_sel:DWORD dst_unused:UNUSED_PAD src0_sel:WORD_1 src1_sel:DWORD
	v_fma_f16 v13, v62, v4, v13
	v_cvt_f32_f16_e32 v13, v13
	v_cmp_ne_u32_e32 vcc, 0, v2
	v_cndmask_b32_e64 v2, 0, 1, vcc
	v_lshl_or_b32 v2, v2, 9, v8
	v_cvt_f64_f32_e32 v[13:14], v13
	v_cmp_eq_u32_e32 vcc, s17, v11
	v_cndmask_b32_e32 v2, v15, v2, vcc
	v_lshrrev_b32_e32 v11, 16, v12
	v_and_or_b32 v2, v11, s18, v2
	v_mul_f64 v[11:12], v[13:14], s[14:15]
	v_and_b32_e32 v0, 0xffff, v0
	v_add_co_u32_e32 v13, vcc, s10, v6
	v_lshl_or_b32 v0, v2, 16, v0
	v_addc_co_u32_e32 v14, vcc, v7, v9, vcc
	global_store_dword v[13:14], v0, off
	v_and_or_b32 v0, v12, s19, v11
	v_cmp_ne_u32_e32 vcc, 0, v0
	v_cndmask_b32_e64 v0, 0, 1, vcc
	v_lshrrev_b32_e32 v2, 8, v12
	v_bfe_u32 v6, v12, 20, 11
	v_and_or_b32 v0, v2, s16, v0
	v_sub_u32_e32 v7, 0x3f1, v6
	v_or_b32_e32 v2, 0x1000, v0
	v_med3_i32 v7, v7, 0, 13
	v_lshrrev_b32_e32 v11, v7, v2
	v_lshlrev_b32_e32 v7, v7, v11
	v_cmp_ne_u32_e32 vcc, v7, v2
	v_mul_f16_sdwa v4, v62, v4 dst_sel:DWORD dst_unused:UNUSED_PAD src0_sel:WORD_1 src1_sel:DWORD
	v_cndmask_b32_e64 v2, 0, 1, vcc
	v_fma_f16 v4, v62, v16, -v4
	v_or_b32_e32 v2, v11, v2
	v_add_u32_e32 v11, 0xfffffc10, v6
	v_cvt_f32_f16_e32 v4, v4
	v_lshl_or_b32 v6, v11, 12, v0
	v_cmp_gt_i32_e32 vcc, 1, v11
	v_cndmask_b32_e32 v2, v6, v2, vcc
	v_and_b32_e32 v6, 7, v2
	v_cmp_lt_i32_e32 vcc, 5, v6
	v_cmp_eq_u32_e64 s[2:3], 3, v6
	v_cvt_f64_f32_e32 v[6:7], v4
	v_lshrrev_b32_e32 v2, 2, v2
	s_or_b64 vcc, s[2:3], vcc
	v_addc_co_u32_e32 v2, vcc, 0, v2, vcc
	v_mul_f64 v[15:16], v[6:7], s[14:15]
	v_cmp_gt_i32_e32 vcc, 31, v11
	v_cndmask_b32_e32 v2, v8, v2, vcc
	v_cmp_ne_u32_e32 vcc, 0, v0
	v_cndmask_b32_e64 v0, 0, 1, vcc
	v_lshl_or_b32 v0, v0, 9, v8
	v_cmp_eq_u32_e32 vcc, s17, v11
	v_cndmask_b32_e32 v0, v2, v0, vcc
	v_lshrrev_b32_e32 v2, 16, v12
	v_and_or_b32 v0, v2, s18, v0
	v_and_or_b32 v2, v16, s19, v15
	v_cmp_ne_u32_e32 vcc, 0, v2
	v_cndmask_b32_e64 v2, 0, 1, vcc
	v_lshrrev_b32_e32 v4, 8, v16
	v_bfe_u32 v6, v16, 20, 11
	v_and_or_b32 v2, v4, s16, v2
	v_sub_u32_e32 v7, 0x3f1, v6
	v_or_b32_e32 v4, 0x1000, v2
	v_med3_i32 v7, v7, 0, 13
	v_lshrrev_b32_e32 v11, v7, v4
	v_lshlrev_b32_e32 v7, v7, v11
	v_cmp_ne_u32_e32 vcc, v7, v4
	v_cndmask_b32_e64 v4, 0, 1, vcc
	v_add_u32_e32 v15, 0xfffffc10, v6
	v_or_b32_e32 v4, v11, v4
	v_lshl_or_b32 v6, v15, 12, v2
	v_cmp_gt_i32_e32 vcc, 1, v15
	v_cndmask_b32_e32 v4, v6, v4, vcc
	v_and_b32_e32 v6, 7, v4
	v_cmp_lt_i32_e32 vcc, 5, v6
	v_cmp_eq_u32_e64 s[2:3], 3, v6
	ds_read2st64_b32 v[6:7], v55 offset0:124 offset1:132
	v_lshrrev_b32_e32 v4, 2, v4
	s_or_b64 vcc, s[2:3], vcc
	v_addc_co_u32_e32 v4, vcc, 0, v4, vcc
	s_waitcnt lgkmcnt(0)
	v_lshrrev_b32_e32 v17, 16, v6
	v_mul_f16_sdwa v11, v61, v17 dst_sel:DWORD dst_unused:UNUSED_PAD src0_sel:WORD_1 src1_sel:DWORD
	v_fma_f16 v11, v61, v6, v11
	v_cvt_f32_f16_e32 v11, v11
	v_cmp_gt_i32_e32 vcc, 31, v15
	v_cndmask_b32_e32 v4, v8, v4, vcc
	v_cmp_ne_u32_e32 vcc, 0, v2
	v_cvt_f64_f32_e32 v[11:12], v11
	v_cndmask_b32_e64 v2, 0, 1, vcc
	v_lshl_or_b32 v2, v2, 9, v8
	v_cmp_eq_u32_e32 vcc, s17, v15
	v_mul_f64 v[11:12], v[11:12], s[14:15]
	v_cndmask_b32_e32 v2, v4, v2, vcc
	v_lshrrev_b32_e32 v4, 16, v16
	v_and_or_b32 v2, v4, s18, v2
	v_and_b32_e32 v0, 0xffff, v0
	v_add_co_u32_e32 v13, vcc, s10, v13
	v_lshl_or_b32 v0, v2, 16, v0
	v_addc_co_u32_e32 v14, vcc, v14, v9, vcc
	global_store_dword v[13:14], v0, off
	v_and_or_b32 v0, v12, s19, v11
	v_cmp_ne_u32_e32 vcc, 0, v0
	v_cndmask_b32_e64 v0, 0, 1, vcc
	v_lshrrev_b32_e32 v2, 8, v12
	v_bfe_u32 v4, v12, 20, 11
	v_and_or_b32 v0, v2, s16, v0
	v_sub_u32_e32 v11, 0x3f1, v4
	v_mul_f16_sdwa v6, v61, v6 dst_sel:DWORD dst_unused:UNUSED_PAD src0_sel:WORD_1 src1_sel:DWORD
	v_or_b32_e32 v2, 0x1000, v0
	v_med3_i32 v11, v11, 0, 13
	v_fma_f16 v6, v61, v17, -v6
	v_lshrrev_b32_e32 v15, v11, v2
	v_cvt_f32_f16_e32 v6, v6
	v_lshlrev_b32_e32 v11, v11, v15
	v_cmp_ne_u32_e32 vcc, v11, v2
	v_cndmask_b32_e64 v2, 0, 1, vcc
	v_or_b32_e32 v2, v15, v2
	v_add_u32_e32 v4, 0xfffffc10, v4
	v_cvt_f64_f32_e32 v[15:16], v6
	v_lshl_or_b32 v11, v4, 12, v0
	v_cmp_gt_i32_e32 vcc, 1, v4
	v_cndmask_b32_e32 v2, v11, v2, vcc
	v_and_b32_e32 v11, 7, v2
	v_cmp_lt_i32_e32 vcc, 5, v11
	v_cmp_eq_u32_e64 s[2:3], 3, v11
	v_mul_f64 v[15:16], v[15:16], s[14:15]
	v_lshrrev_b32_e32 v2, 2, v2
	s_or_b64 vcc, s[2:3], vcc
	v_addc_co_u32_e32 v2, vcc, 0, v2, vcc
	v_cmp_gt_i32_e32 vcc, 31, v4
	v_cndmask_b32_e32 v2, v8, v2, vcc
	v_cmp_ne_u32_e32 vcc, 0, v0
	v_cndmask_b32_e64 v0, 0, 1, vcc
	v_lshl_or_b32 v0, v0, 9, v8
	v_cmp_eq_u32_e32 vcc, s17, v4
	v_cndmask_b32_e32 v0, v2, v0, vcc
	v_lshrrev_b32_e32 v2, 16, v12
	v_and_or_b32 v0, v2, s18, v0
	v_and_or_b32 v2, v16, s19, v15
	v_cmp_ne_u32_e32 vcc, 0, v2
	v_cndmask_b32_e64 v2, 0, 1, vcc
	v_lshrrev_b32_e32 v4, 8, v16
	v_bfe_u32 v6, v16, 20, 11
	v_and_or_b32 v2, v4, s16, v2
	v_sub_u32_e32 v11, 0x3f1, v6
	v_or_b32_e32 v4, 0x1000, v2
	v_med3_i32 v11, v11, 0, 13
	v_lshrrev_b32_e32 v12, v11, v4
	v_lshlrev_b32_e32 v11, v11, v12
	v_cmp_ne_u32_e32 vcc, v11, v4
	v_cndmask_b32_e64 v4, 0, 1, vcc
	v_add_u32_e32 v6, 0xfffffc10, v6
	v_or_b32_e32 v4, v12, v4
	v_lshl_or_b32 v11, v6, 12, v2
	v_cmp_gt_i32_e32 vcc, 1, v6
	v_cndmask_b32_e32 v4, v11, v4, vcc
	v_and_b32_e32 v11, 7, v4
	v_lshrrev_b32_e32 v15, 16, v1
	v_cmp_lt_i32_e32 vcc, 5, v11
	v_cmp_eq_u32_e64 s[2:3], 3, v11
	v_mul_f16_sdwa v11, v60, v15 dst_sel:DWORD dst_unused:UNUSED_PAD src0_sel:WORD_1 src1_sel:DWORD
	v_fma_f16 v11, v60, v1, v11
	v_cvt_f32_f16_e32 v11, v11
	v_lshrrev_b32_e32 v4, 2, v4
	s_or_b64 vcc, s[2:3], vcc
	v_addc_co_u32_e32 v4, vcc, 0, v4, vcc
	v_cvt_f64_f32_e32 v[11:12], v11
	v_cmp_gt_i32_e32 vcc, 31, v6
	v_cndmask_b32_e32 v4, v8, v4, vcc
	v_cmp_ne_u32_e32 vcc, 0, v2
	v_mul_f64 v[11:12], v[11:12], s[14:15]
	v_cndmask_b32_e64 v2, 0, 1, vcc
	v_lshl_or_b32 v2, v2, 9, v8
	v_cmp_eq_u32_e32 vcc, s17, v6
	v_cndmask_b32_e32 v2, v4, v2, vcc
	v_lshrrev_b32_e32 v4, 16, v16
	v_and_or_b32 v2, v4, s18, v2
	v_and_b32_e32 v0, 0xffff, v0
	v_add_co_u32_e32 v13, vcc, s10, v13
	v_lshl_or_b32 v0, v2, 16, v0
	v_addc_co_u32_e32 v14, vcc, v14, v9, vcc
	global_store_dword v[13:14], v0, off
	v_and_or_b32 v0, v12, s19, v11
	v_cmp_ne_u32_e32 vcc, 0, v0
	v_cndmask_b32_e64 v0, 0, 1, vcc
	v_lshrrev_b32_e32 v2, 8, v12
	v_bfe_u32 v4, v12, 20, 11
	v_and_or_b32 v2, v2, s16, v0
	v_sub_u32_e32 v6, 0x3f1, v4
	v_or_b32_e32 v0, 0x1000, v2
	v_med3_i32 v6, v6, 0, 13
	v_lshrrev_b32_e32 v11, v6, v0
	v_lshlrev_b32_e32 v6, v6, v11
	v_mul_f16_sdwa v1, v60, v1 dst_sel:DWORD dst_unused:UNUSED_PAD src0_sel:WORD_1 src1_sel:DWORD
	v_cmp_ne_u32_e32 vcc, v6, v0
	v_fma_f16 v1, v60, v15, -v1
	v_cndmask_b32_e64 v0, 0, 1, vcc
	v_add_u32_e32 v4, 0xfffffc10, v4
	v_cvt_f32_f16_e32 v1, v1
	v_or_b32_e32 v0, v11, v0
	v_lshl_or_b32 v6, v4, 12, v2
	v_cmp_gt_i32_e32 vcc, 1, v4
	v_cndmask_b32_e32 v0, v6, v0, vcc
	v_and_b32_e32 v6, 7, v0
	v_cmp_lt_i32_e32 vcc, 5, v6
	v_cmp_eq_u32_e64 s[2:3], 3, v6
	v_lshrrev_b32_e32 v6, 2, v0
	v_cvt_f64_f32_e32 v[0:1], v1
	s_or_b64 vcc, s[2:3], vcc
	v_addc_co_u32_e32 v6, vcc, 0, v6, vcc
	v_mul_f64 v[0:1], v[0:1], s[14:15]
	v_cmp_gt_i32_e32 vcc, 31, v4
	v_cndmask_b32_e32 v6, v8, v6, vcc
	v_cmp_ne_u32_e32 vcc, 0, v2
	v_cndmask_b32_e64 v2, 0, 1, vcc
	v_lshl_or_b32 v2, v2, 9, v8
	v_cmp_eq_u32_e32 vcc, s17, v4
	v_cndmask_b32_e32 v2, v6, v2, vcc
	v_and_or_b32 v0, v1, s19, v0
	v_lshrrev_b32_e32 v4, 16, v12
	v_cmp_ne_u32_e32 vcc, 0, v0
	v_and_or_b32 v2, v4, s18, v2
	v_cndmask_b32_e64 v0, 0, 1, vcc
	v_lshrrev_b32_e32 v4, 8, v1
	v_bfe_u32 v6, v1, 20, 11
	v_and_or_b32 v0, v4, s16, v0
	v_sub_u32_e32 v11, 0x3f1, v6
	v_or_b32_e32 v4, 0x1000, v0
	v_med3_i32 v11, v11, 0, 13
	v_lshrrev_b32_e32 v12, v11, v4
	v_lshlrev_b32_e32 v11, v11, v12
	v_cmp_ne_u32_e32 vcc, v11, v4
	v_cndmask_b32_e64 v4, 0, 1, vcc
	v_add_u32_e32 v6, 0xfffffc10, v6
	v_or_b32_e32 v4, v12, v4
	v_lshl_or_b32 v11, v6, 12, v0
	v_cmp_gt_i32_e32 vcc, 1, v6
	v_cndmask_b32_e32 v4, v11, v4, vcc
	v_and_b32_e32 v11, 7, v4
	v_lshrrev_b32_e32 v15, 16, v3
	v_cmp_lt_i32_e32 vcc, 5, v11
	v_cmp_eq_u32_e64 s[2:3], 3, v11
	v_mul_f16_sdwa v11, v59, v15 dst_sel:DWORD dst_unused:UNUSED_PAD src0_sel:WORD_1 src1_sel:DWORD
	v_fma_f16 v11, v59, v3, v11
	v_cvt_f32_f16_e32 v11, v11
	v_lshrrev_b32_e32 v4, 2, v4
	s_or_b64 vcc, s[2:3], vcc
	v_addc_co_u32_e32 v4, vcc, 0, v4, vcc
	v_cmp_gt_i32_e32 vcc, 31, v6
	v_cndmask_b32_e32 v4, v8, v4, vcc
	v_cmp_ne_u32_e32 vcc, 0, v0
	v_cvt_f64_f32_e32 v[11:12], v11
	v_cndmask_b32_e64 v0, 0, 1, vcc
	v_lshl_or_b32 v0, v0, 9, v8
	v_cmp_eq_u32_e32 vcc, s17, v6
	v_cndmask_b32_e32 v0, v4, v0, vcc
	v_lshrrev_b32_e32 v1, 16, v1
	v_and_or_b32 v4, v1, s18, v0
	v_mul_f64 v[0:1], v[11:12], s[14:15]
	v_add_co_u32_e32 v11, vcc, s4, v13
	v_and_b32_e32 v2, 0xffff, v2
	v_addc_co_u32_e32 v12, vcc, v14, v10, vcc
	v_lshl_or_b32 v2, v4, 16, v2
	global_store_dword v[11:12], v2, off
	v_and_or_b32 v0, v1, s19, v0
	v_cmp_ne_u32_e32 vcc, 0, v0
	v_cndmask_b32_e64 v0, 0, 1, vcc
	v_lshrrev_b32_e32 v2, 8, v1
	v_bfe_u32 v4, v1, 20, 11
	v_and_or_b32 v0, v2, s16, v0
	v_sub_u32_e32 v6, 0x3f1, v4
	v_or_b32_e32 v2, 0x1000, v0
	v_med3_i32 v6, v6, 0, 13
	v_lshrrev_b32_e32 v10, v6, v2
	v_lshlrev_b32_e32 v6, v6, v10
	v_mul_f16_sdwa v3, v59, v3 dst_sel:DWORD dst_unused:UNUSED_PAD src0_sel:WORD_1 src1_sel:DWORD
	v_cmp_ne_u32_e32 vcc, v6, v2
	v_fma_f16 v3, v59, v15, -v3
	v_cndmask_b32_e64 v2, 0, 1, vcc
	v_add_u32_e32 v4, 0xfffffc10, v4
	v_cvt_f32_f16_e32 v3, v3
	v_or_b32_e32 v2, v10, v2
	v_lshl_or_b32 v6, v4, 12, v0
	v_cmp_gt_i32_e32 vcc, 1, v4
	v_cndmask_b32_e32 v2, v6, v2, vcc
	v_and_b32_e32 v6, 7, v2
	v_cmp_lt_i32_e32 vcc, 5, v6
	v_cmp_eq_u32_e64 s[2:3], 3, v6
	v_lshrrev_b32_e32 v6, 2, v2
	v_cvt_f64_f32_e32 v[2:3], v3
	s_or_b64 vcc, s[2:3], vcc
	v_addc_co_u32_e32 v6, vcc, 0, v6, vcc
	v_mul_f64 v[2:3], v[2:3], s[14:15]
	v_cmp_gt_i32_e32 vcc, 31, v4
	v_cndmask_b32_e32 v6, v8, v6, vcc
	v_cmp_ne_u32_e32 vcc, 0, v0
	v_cndmask_b32_e64 v0, 0, 1, vcc
	v_lshl_or_b32 v0, v0, 9, v8
	v_cmp_eq_u32_e32 vcc, s17, v4
	v_cndmask_b32_e32 v0, v6, v0, vcc
	v_lshrrev_b32_e32 v1, 16, v1
	v_and_or_b32 v4, v1, s18, v0
	v_and_or_b32 v0, v3, s19, v2
	v_cmp_ne_u32_e32 vcc, 0, v0
	v_cndmask_b32_e64 v0, 0, 1, vcc
	v_lshrrev_b32_e32 v1, 8, v3
	v_bfe_u32 v2, v3, 20, 11
	v_and_or_b32 v0, v1, s16, v0
	v_sub_u32_e32 v6, 0x3f1, v2
	v_or_b32_e32 v1, 0x1000, v0
	v_med3_i32 v6, v6, 0, 13
	v_lshrrev_b32_e32 v10, v6, v1
	v_lshlrev_b32_e32 v6, v6, v10
	v_cmp_ne_u32_e32 vcc, v6, v1
	v_cndmask_b32_e64 v1, 0, 1, vcc
	v_add_u32_e32 v2, 0xfffffc10, v2
	v_or_b32_e32 v1, v10, v1
	v_lshl_or_b32 v6, v2, 12, v0
	v_cmp_gt_i32_e32 vcc, 1, v2
	v_cndmask_b32_e32 v1, v6, v1, vcc
	v_and_b32_e32 v6, 7, v1
	v_cmp_lt_i32_e32 vcc, 5, v6
	v_cmp_eq_u32_e64 s[2:3], 3, v6
	v_lshrrev_b32_e32 v1, 2, v1
	s_or_b64 vcc, s[2:3], vcc
	v_addc_co_u32_e32 v1, vcc, 0, v1, vcc
	v_cmp_gt_i32_e32 vcc, 31, v2
	v_lshrrev_b32_e32 v10, 16, v5
	v_cndmask_b32_e32 v6, v8, v1, vcc
	v_mul_f16_sdwa v1, v58, v10 dst_sel:DWORD dst_unused:UNUSED_PAD src0_sel:WORD_1 src1_sel:DWORD
	v_fma_f16 v1, v58, v5, v1
	v_cvt_f32_f16_e32 v1, v1
	v_cmp_ne_u32_e32 vcc, 0, v0
	v_cndmask_b32_e64 v0, 0, 1, vcc
	v_lshl_or_b32 v13, v0, 9, v8
	v_cvt_f64_f32_e32 v[0:1], v1
	v_cmp_eq_u32_e32 vcc, s17, v2
	v_cndmask_b32_e32 v2, v6, v13, vcc
	v_lshrrev_b32_e32 v3, 16, v3
	v_mul_f64 v[0:1], v[0:1], s[14:15]
	v_and_or_b32 v2, v3, s18, v2
	v_and_b32_e32 v3, 0xffff, v4
	v_lshl_or_b32 v4, v2, 16, v3
	v_add_co_u32_e32 v2, vcc, s10, v11
	v_addc_co_u32_e32 v3, vcc, v12, v9, vcc
	v_and_or_b32 v0, v1, s19, v0
	v_cmp_ne_u32_e32 vcc, 0, v0
	global_store_dword v[2:3], v4, off
	v_cndmask_b32_e64 v0, 0, 1, vcc
	v_lshrrev_b32_e32 v4, 8, v1
	v_bfe_u32 v6, v1, 20, 11
	v_and_or_b32 v0, v4, s16, v0
	v_sub_u32_e32 v11, 0x3f1, v6
	v_or_b32_e32 v4, 0x1000, v0
	v_med3_i32 v11, v11, 0, 13
	v_lshrrev_b32_e32 v12, v11, v4
	v_mul_f16_sdwa v5, v58, v5 dst_sel:DWORD dst_unused:UNUSED_PAD src0_sel:WORD_1 src1_sel:DWORD
	v_lshlrev_b32_e32 v11, v11, v12
	v_fma_f16 v5, v58, v10, -v5
	v_cmp_ne_u32_e32 vcc, v11, v4
	v_cvt_f32_f16_e32 v5, v5
	v_cndmask_b32_e64 v4, 0, 1, vcc
	v_add_u32_e32 v6, 0xfffffc10, v6
	v_or_b32_e32 v4, v12, v4
	v_lshl_or_b32 v11, v6, 12, v0
	v_cmp_gt_i32_e32 vcc, 1, v6
	v_cndmask_b32_e32 v4, v11, v4, vcc
	v_and_b32_e32 v11, 7, v4
	v_lshrrev_b32_e32 v10, 2, v4
	v_cvt_f64_f32_e32 v[4:5], v5
	v_cmp_lt_i32_e32 vcc, 5, v11
	v_cmp_eq_u32_e64 s[2:3], 3, v11
	s_or_b64 vcc, s[2:3], vcc
	v_mul_f64 v[4:5], v[4:5], s[14:15]
	v_addc_co_u32_e32 v10, vcc, 0, v10, vcc
	v_cmp_gt_i32_e32 vcc, 31, v6
	v_cndmask_b32_e32 v10, v8, v10, vcc
	v_cmp_ne_u32_e32 vcc, 0, v0
	v_cndmask_b32_e64 v0, 0, 1, vcc
	v_lshl_or_b32 v0, v0, 9, v8
	v_cmp_eq_u32_e32 vcc, s17, v6
	v_cndmask_b32_e32 v0, v10, v0, vcc
	v_lshrrev_b32_e32 v1, 16, v1
	v_and_or_b32 v6, v1, s18, v0
	v_and_or_b32 v0, v5, s19, v4
	v_cmp_ne_u32_e32 vcc, 0, v0
	v_cndmask_b32_e64 v0, 0, 1, vcc
	v_lshrrev_b32_e32 v1, 8, v5
	v_bfe_u32 v4, v5, 20, 11
	v_and_or_b32 v0, v1, s16, v0
	v_sub_u32_e32 v10, 0x3f1, v4
	v_or_b32_e32 v1, 0x1000, v0
	v_med3_i32 v10, v10, 0, 13
	v_lshrrev_b32_e32 v11, v10, v1
	v_lshlrev_b32_e32 v10, v10, v11
	v_cmp_ne_u32_e32 vcc, v10, v1
	v_cndmask_b32_e64 v1, 0, 1, vcc
	v_add_u32_e32 v4, 0xfffffc10, v4
	v_or_b32_e32 v1, v11, v1
	v_lshl_or_b32 v10, v4, 12, v0
	v_cmp_gt_i32_e32 vcc, 1, v4
	v_cndmask_b32_e32 v1, v10, v1, vcc
	v_and_b32_e32 v10, 7, v1
	v_cmp_lt_i32_e32 vcc, 5, v10
	v_cmp_eq_u32_e64 s[2:3], 3, v10
	v_lshrrev_b32_e32 v1, 2, v1
	s_or_b64 vcc, s[2:3], vcc
	v_addc_co_u32_e32 v1, vcc, 0, v1, vcc
	v_cmp_gt_i32_e32 vcc, 31, v4
	v_lshrrev_b32_e32 v11, 16, v7
	v_cndmask_b32_e32 v10, v8, v1, vcc
	v_mul_f16_sdwa v1, v56, v11 dst_sel:DWORD dst_unused:UNUSED_PAD src0_sel:WORD_1 src1_sel:DWORD
	v_fma_f16 v1, v56, v7, v1
	v_cvt_f32_f16_e32 v1, v1
	v_cmp_ne_u32_e32 vcc, 0, v0
	v_cndmask_b32_e64 v0, 0, 1, vcc
	v_lshl_or_b32 v12, v0, 9, v8
	v_cvt_f64_f32_e32 v[0:1], v1
	v_cmp_eq_u32_e32 vcc, s17, v4
	v_cndmask_b32_e32 v4, v10, v12, vcc
	v_lshrrev_b32_e32 v5, 16, v5
	v_mul_f64 v[0:1], v[0:1], s[14:15]
	v_add_co_u32_e32 v2, vcc, s10, v2
	v_and_or_b32 v4, v5, s18, v4
	v_and_b32_e32 v5, 0xffff, v6
	v_addc_co_u32_e32 v3, vcc, v3, v9, vcc
	v_lshl_or_b32 v4, v4, 16, v5
	v_and_or_b32 v0, v1, s19, v0
	v_cmp_ne_u32_e32 vcc, 0, v0
	global_store_dword v[2:3], v4, off
	v_cndmask_b32_e64 v0, 0, 1, vcc
	v_lshrrev_b32_e32 v4, 8, v1
	v_bfe_u32 v5, v1, 20, 11
	v_and_or_b32 v0, v4, s16, v0
	v_sub_u32_e32 v6, 0x3f1, v5
	v_or_b32_e32 v4, 0x1000, v0
	v_med3_i32 v6, v6, 0, 13
	v_lshrrev_b32_e32 v10, v6, v4
	v_lshlrev_b32_e32 v6, v6, v10
	v_mul_f16_sdwa v7, v56, v7 dst_sel:DWORD dst_unused:UNUSED_PAD src0_sel:WORD_1 src1_sel:DWORD
	v_cmp_ne_u32_e32 vcc, v6, v4
	v_fma_f16 v7, v56, v11, -v7
	v_cndmask_b32_e64 v4, 0, 1, vcc
	v_add_u32_e32 v6, 0xfffffc10, v5
	v_cvt_f32_f16_e32 v7, v7
	v_or_b32_e32 v4, v10, v4
	v_lshl_or_b32 v5, v6, 12, v0
	v_cmp_gt_i32_e32 vcc, 1, v6
	v_cndmask_b32_e32 v4, v5, v4, vcc
	v_and_b32_e32 v5, 7, v4
	v_cmp_lt_i32_e32 vcc, 5, v5
	v_cmp_eq_u32_e64 s[2:3], 3, v5
	v_lshrrev_b32_e32 v10, 2, v4
	v_cvt_f64_f32_e32 v[4:5], v7
	s_or_b64 vcc, s[2:3], vcc
	v_addc_co_u32_e32 v7, vcc, 0, v10, vcc
	v_mul_f64 v[4:5], v[4:5], s[14:15]
	v_cmp_gt_i32_e32 vcc, 31, v6
	v_cndmask_b32_e32 v7, v8, v7, vcc
	v_cmp_ne_u32_e32 vcc, 0, v0
	v_cndmask_b32_e64 v0, 0, 1, vcc
	v_lshl_or_b32 v0, v0, 9, v8
	v_cmp_eq_u32_e32 vcc, s17, v6
	v_cndmask_b32_e32 v0, v7, v0, vcc
	v_lshrrev_b32_e32 v1, 16, v1
	v_and_or_b32 v0, v1, s18, v0
	v_and_or_b32 v1, v5, s19, v4
	v_cmp_ne_u32_e32 vcc, 0, v1
	v_cndmask_b32_e64 v1, 0, 1, vcc
	v_lshrrev_b32_e32 v4, 8, v5
	v_bfe_u32 v6, v5, 20, 11
	v_and_or_b32 v1, v4, s16, v1
	v_sub_u32_e32 v7, 0x3f1, v6
	v_or_b32_e32 v4, 0x1000, v1
	v_med3_i32 v7, v7, 0, 13
	v_lshrrev_b32_e32 v10, v7, v4
	v_lshlrev_b32_e32 v7, v7, v10
	v_cmp_ne_u32_e32 vcc, v7, v4
	v_cndmask_b32_e64 v4, 0, 1, vcc
	v_add_u32_e32 v6, 0xfffffc10, v6
	v_or_b32_e32 v4, v10, v4
	v_lshl_or_b32 v7, v6, 12, v1
	v_cmp_gt_i32_e32 vcc, 1, v6
	v_cndmask_b32_e32 v4, v7, v4, vcc
	v_and_b32_e32 v7, 7, v4
	v_cmp_lt_i32_e32 vcc, 5, v7
	v_cmp_eq_u32_e64 s[2:3], 3, v7
	v_lshrrev_b32_e32 v4, 2, v4
	s_or_b64 vcc, s[2:3], vcc
	v_addc_co_u32_e32 v4, vcc, 0, v4, vcc
	v_cmp_gt_i32_e32 vcc, 31, v6
	v_cndmask_b32_e32 v4, v8, v4, vcc
	v_cmp_ne_u32_e32 vcc, 0, v1
	v_cndmask_b32_e64 v1, 0, 1, vcc
	v_lshl_or_b32 v1, v1, 9, v8
	v_cmp_eq_u32_e32 vcc, s17, v6
	v_cndmask_b32_e32 v1, v4, v1, vcc
	v_lshrrev_b32_e32 v4, 16, v5
	v_and_or_b32 v1, v4, s18, v1
	v_and_b32_e32 v0, 0xffff, v0
	v_lshl_or_b32 v4, v1, 16, v0
	v_add_co_u32_e32 v0, vcc, s10, v2
	v_addc_co_u32_e32 v1, vcc, v3, v9, vcc
	global_store_dword v[0:1], v4, off
	s_and_b64 exec, exec, s[0:1]
	s_cbranch_execz .LBB0_39
; %bb.38:
	buffer_load_dword v2, off, s[20:23], 0  ; 4-byte Folded Reload
	v_mov_b32_e32 v10, s5
	v_add_co_u32_e32 v9, vcc, s4, v0
	v_addc_co_u32_e32 v10, vcc, v1, v10, vcc
	s_movk_i32 s0, 0x4000
	s_waitcnt vmcnt(0)
	global_load_dword v4, v2, s[6:7]
	ds_read2st64_b32 v[2:3], v55 offset0:32 offset1:68
	s_waitcnt lgkmcnt(0)
	v_lshrrev_b32_e32 v5, 16, v2
	s_waitcnt vmcnt(0)
	v_mul_f16_sdwa v6, v5, v4 dst_sel:DWORD dst_unused:UNUSED_PAD src0_sel:DWORD src1_sel:WORD_1
	v_fma_f16 v6, v2, v4, v6
	v_mul_f16_sdwa v2, v2, v4 dst_sel:DWORD dst_unused:UNUSED_PAD src0_sel:DWORD src1_sel:WORD_1
	v_cvt_f32_f16_e32 v6, v6
	v_fma_f16 v2, v4, v5, -v2
	v_cvt_f32_f16_e32 v2, v2
	v_cvt_f64_f32_e32 v[4:5], v6
	v_cvt_f64_f32_e32 v[6:7], v2
	v_mul_f64 v[4:5], v[4:5], s[14:15]
	v_mul_f64 v[0:1], v[6:7], s[14:15]
	v_add_co_u32_e32 v6, vcc, s0, v53
	v_addc_co_u32_e32 v7, vcc, 0, v54, vcc
	v_and_or_b32 v2, v5, s19, v4
	v_cmp_ne_u32_e32 vcc, 0, v2
	v_and_or_b32 v0, v1, s19, v0
	v_lshrrev_b32_e32 v4, 8, v5
	v_bfe_u32 v11, v5, 20, 11
	v_cndmask_b32_e64 v2, 0, 1, vcc
	v_cmp_ne_u32_e32 vcc, 0, v0
	v_lshrrev_b32_e32 v12, 8, v1
	v_bfe_u32 v13, v1, 20, 11
	v_sub_u32_e32 v14, 0x3f1, v11
	v_cndmask_b32_e64 v0, 0, 1, vcc
	v_and_or_b32 v2, v4, s16, v2
	v_sub_u32_e32 v15, 0x3f1, v13
	v_med3_i32 v4, v14, 0, 13
	v_and_or_b32 v0, v12, s16, v0
	v_or_b32_e32 v14, 0x1000, v2
	v_add_u32_e32 v11, 0xfffffc10, v11
	v_med3_i32 v12, v15, 0, 13
	v_cmp_ne_u32_e32 vcc, 0, v2
	v_or_b32_e32 v16, 0x1000, v0
	v_lshrrev_b32_e32 v18, v4, v14
	v_add_u32_e32 v13, 0xfffffc10, v13
	v_lshl_or_b32 v15, v11, 12, v2
	v_cndmask_b32_e64 v2, 0, 1, vcc
	v_cmp_ne_u32_e32 vcc, 0, v0
	v_lshrrev_b32_e32 v19, v12, v16
	v_lshlrev_b32_e32 v4, v4, v18
	v_lshl_or_b32 v17, v13, 12, v0
	v_cndmask_b32_e64 v0, 0, 1, vcc
	v_lshlrev_b32_e32 v12, v12, v19
	v_cmp_ne_u32_e32 vcc, v4, v14
	v_cndmask_b32_e64 v4, 0, 1, vcc
	v_cmp_ne_u32_e32 vcc, v12, v16
	v_cndmask_b32_e64 v12, 0, 1, vcc
	v_or_b32_e32 v4, v18, v4
	v_cmp_gt_i32_e32 vcc, 1, v11
	v_cndmask_b32_e32 v4, v15, v4, vcc
	v_or_b32_e32 v12, v19, v12
	v_cmp_gt_i32_e32 vcc, 1, v13
	v_and_b32_e32 v14, 7, v4
	v_cndmask_b32_e32 v12, v17, v12, vcc
	v_cmp_lt_i32_e32 vcc, 5, v14
	v_cmp_eq_u32_e64 s[0:1], 3, v14
	v_lshrrev_b32_e32 v4, 2, v4
	v_and_b32_e32 v15, 7, v12
	s_or_b64 vcc, s[0:1], vcc
	v_cmp_lt_i32_e64 s[2:3], 5, v15
	v_cmp_eq_u32_e64 s[4:5], 3, v15
	v_addc_co_u32_e32 v4, vcc, 0, v4, vcc
	v_lshrrev_b32_e32 v12, 2, v12
	s_or_b64 vcc, s[4:5], s[2:3]
	v_addc_co_u32_e32 v12, vcc, 0, v12, vcc
	v_cmp_gt_i32_e32 vcc, 31, v11
	v_cndmask_b32_e32 v4, v8, v4, vcc
	v_cmp_gt_i32_e32 vcc, 31, v13
	v_lshl_or_b32 v2, v2, 9, v8
	v_cndmask_b32_e32 v12, v8, v12, vcc
	v_cmp_eq_u32_e32 vcc, s17, v11
	v_lshrrev_b32_e32 v5, 16, v5
	v_lshl_or_b32 v0, v0, 9, v8
	v_cndmask_b32_e32 v2, v4, v2, vcc
	v_cmp_eq_u32_e32 vcc, s17, v13
	v_lshrrev_b32_e32 v1, 16, v1
	v_cndmask_b32_e32 v0, v12, v0, vcc
	v_and_or_b32 v2, v5, s18, v2
	v_and_or_b32 v0, v1, s18, v0
	v_and_b32_e32 v1, 0xffff, v2
	v_lshl_or_b32 v0, v0, 16, v1
	global_store_dword v[9:10], v0, off
	global_load_dword v0, v[6:7], off offset:1024
	v_lshrrev_b32_e32 v1, 16, v3
	v_add_co_u32_e32 v6, vcc, s10, v9
	s_waitcnt vmcnt(0)
	v_mul_f16_sdwa v2, v1, v0 dst_sel:DWORD dst_unused:UNUSED_PAD src0_sel:DWORD src1_sel:WORD_1
	v_fma_f16 v2, v3, v0, v2
	v_mul_f16_sdwa v3, v3, v0 dst_sel:DWORD dst_unused:UNUSED_PAD src0_sel:DWORD src1_sel:WORD_1
	v_cvt_f32_f16_e32 v2, v2
	v_fma_f16 v0, v0, v1, -v3
	v_cvt_f32_f16_e32 v3, v0
	v_cvt_f64_f32_e32 v[0:1], v2
	v_cvt_f64_f32_e32 v[2:3], v3
	v_mul_f64 v[4:5], v[0:1], s[14:15]
	v_mov_b32_e32 v0, s11
	v_mul_f64 v[1:2], v[2:3], s[14:15]
	v_addc_co_u32_e32 v7, vcc, v10, v0, vcc
	v_and_or_b32 v3, v5, s19, v4
	v_cmp_ne_u32_e32 vcc, 0, v3
	v_and_or_b32 v1, v2, s19, v1
	v_lshrrev_b32_e32 v4, 8, v5
	v_bfe_u32 v9, v5, 20, 11
	v_cndmask_b32_e64 v3, 0, 1, vcc
	v_cmp_ne_u32_e32 vcc, 0, v1
	v_lshrrev_b32_e32 v10, 8, v2
	v_bfe_u32 v11, v2, 20, 11
	v_sub_u32_e32 v12, 0x3f1, v9
	v_cndmask_b32_e64 v1, 0, 1, vcc
	v_and_or_b32 v3, v4, s16, v3
	v_sub_u32_e32 v13, 0x3f1, v11
	v_med3_i32 v4, v12, 0, 13
	v_and_or_b32 v1, v10, s16, v1
	v_or_b32_e32 v12, 0x1000, v3
	v_add_u32_e32 v9, 0xfffffc10, v9
	v_med3_i32 v10, v13, 0, 13
	v_cmp_ne_u32_e32 vcc, 0, v3
	v_or_b32_e32 v14, 0x1000, v1
	v_lshrrev_b32_e32 v16, v4, v12
	v_add_u32_e32 v11, 0xfffffc10, v11
	v_lshl_or_b32 v13, v9, 12, v3
	v_cndmask_b32_e64 v3, 0, 1, vcc
	v_cmp_ne_u32_e32 vcc, 0, v1
	v_lshrrev_b32_e32 v17, v10, v14
	v_lshlrev_b32_e32 v4, v4, v16
	v_lshl_or_b32 v15, v11, 12, v1
	v_cndmask_b32_e64 v1, 0, 1, vcc
	v_lshlrev_b32_e32 v10, v10, v17
	v_cmp_ne_u32_e32 vcc, v4, v12
	v_cndmask_b32_e64 v4, 0, 1, vcc
	v_cmp_ne_u32_e32 vcc, v10, v14
	v_cndmask_b32_e64 v10, 0, 1, vcc
	v_or_b32_e32 v4, v16, v4
	v_cmp_gt_i32_e32 vcc, 1, v9
	v_cndmask_b32_e32 v4, v13, v4, vcc
	v_or_b32_e32 v10, v17, v10
	v_cmp_gt_i32_e32 vcc, 1, v11
	v_and_b32_e32 v12, 7, v4
	v_cndmask_b32_e32 v10, v15, v10, vcc
	v_cmp_lt_i32_e32 vcc, 5, v12
	v_cmp_eq_u32_e64 s[0:1], 3, v12
	v_lshrrev_b32_e32 v4, 2, v4
	v_and_b32_e32 v13, 7, v10
	s_or_b64 vcc, s[0:1], vcc
	v_cmp_lt_i32_e64 s[2:3], 5, v13
	v_cmp_eq_u32_e64 s[4:5], 3, v13
	v_addc_co_u32_e32 v4, vcc, 0, v4, vcc
	v_lshrrev_b32_e32 v10, 2, v10
	s_or_b64 vcc, s[4:5], s[2:3]
	v_addc_co_u32_e32 v10, vcc, 0, v10, vcc
	v_cmp_gt_i32_e32 vcc, 31, v9
	v_cndmask_b32_e32 v4, v8, v4, vcc
	v_cmp_gt_i32_e32 vcc, 31, v11
	v_lshl_or_b32 v3, v3, 9, v8
	v_cndmask_b32_e32 v10, v8, v10, vcc
	v_cmp_eq_u32_e32 vcc, s17, v9
	v_lshrrev_b32_e32 v5, 16, v5
	v_lshl_or_b32 v1, v1, 9, v8
	v_cndmask_b32_e32 v3, v4, v3, vcc
	v_cmp_eq_u32_e32 vcc, s17, v11
	v_lshrrev_b32_e32 v2, 16, v2
	v_cndmask_b32_e32 v1, v10, v1, vcc
	v_and_or_b32 v3, v5, s18, v3
	v_and_or_b32 v1, v2, s18, v1
	v_and_b32_e32 v2, 0xffff, v3
	v_lshl_or_b32 v1, v1, 16, v2
	global_store_dword v[6:7], v1, off
	global_load_dword v3, v91, s[6:7]
	ds_read2st64_b32 v[1:2], v55 offset0:104 offset1:140
	v_add_co_u32_e32 v11, vcc, s18, v53
	v_addc_co_u32_e32 v12, vcc, 0, v54, vcc
	s_waitcnt lgkmcnt(0)
	v_lshrrev_b32_e32 v4, 16, v1
	s_waitcnt vmcnt(0)
	v_mul_f16_sdwa v5, v4, v3 dst_sel:DWORD dst_unused:UNUSED_PAD src0_sel:DWORD src1_sel:WORD_1
	v_fma_f16 v5, v1, v3, v5
	v_mul_f16_sdwa v1, v1, v3 dst_sel:DWORD dst_unused:UNUSED_PAD src0_sel:DWORD src1_sel:WORD_1
	v_cvt_f32_f16_e32 v5, v5
	v_fma_f16 v1, v3, v4, -v1
	v_cvt_f32_f16_e32 v1, v1
	v_cvt_f64_f32_e32 v[3:4], v5
	v_add_co_u32_e32 v5, vcc, s10, v6
	v_cvt_f64_f32_e32 v[9:10], v1
	v_mul_f64 v[3:4], v[3:4], s[14:15]
	v_addc_co_u32_e32 v6, vcc, v7, v0, vcc
	v_mul_f64 v[9:10], v[9:10], s[14:15]
	v_and_or_b32 v1, v4, s19, v3
	v_cmp_ne_u32_e32 vcc, 0, v1
	v_lshrrev_b32_e32 v3, 8, v4
	v_and_or_b32 v9, v10, s19, v9
	v_bfe_u32 v7, v4, 20, 11
	v_cndmask_b32_e64 v1, 0, 1, vcc
	v_cmp_ne_u32_e32 vcc, 0, v9
	v_lshrrev_b32_e32 v13, 8, v10
	v_bfe_u32 v14, v10, 20, 11
	v_sub_u32_e32 v15, 0x3f1, v7
	v_cndmask_b32_e64 v9, 0, 1, vcc
	v_and_or_b32 v1, v3, s16, v1
	v_sub_u32_e32 v16, 0x3f1, v14
	v_med3_i32 v3, v15, 0, 13
	v_and_or_b32 v9, v13, s16, v9
	v_or_b32_e32 v15, 0x1000, v1
	v_add_u32_e32 v7, 0xfffffc10, v7
	v_med3_i32 v13, v16, 0, 13
	v_cmp_ne_u32_e32 vcc, 0, v1
	v_or_b32_e32 v17, 0x1000, v9
	v_lshrrev_b32_e32 v19, v3, v15
	v_add_u32_e32 v14, 0xfffffc10, v14
	v_lshl_or_b32 v16, v7, 12, v1
	v_cndmask_b32_e64 v1, 0, 1, vcc
	v_cmp_ne_u32_e32 vcc, 0, v9
	v_lshrrev_b32_e32 v20, v13, v17
	v_lshlrev_b32_e32 v3, v3, v19
	v_lshl_or_b32 v18, v14, 12, v9
	v_cndmask_b32_e64 v9, 0, 1, vcc
	v_lshlrev_b32_e32 v13, v13, v20
	v_cmp_ne_u32_e32 vcc, v3, v15
	v_cndmask_b32_e64 v3, 0, 1, vcc
	v_cmp_ne_u32_e32 vcc, v13, v17
	v_cndmask_b32_e64 v13, 0, 1, vcc
	v_or_b32_e32 v3, v19, v3
	v_cmp_gt_i32_e32 vcc, 1, v7
	v_cndmask_b32_e32 v3, v16, v3, vcc
	v_or_b32_e32 v13, v20, v13
	v_cmp_gt_i32_e32 vcc, 1, v14
	v_and_b32_e32 v15, 7, v3
	v_cndmask_b32_e32 v13, v18, v13, vcc
	v_cmp_lt_i32_e32 vcc, 5, v15
	v_cmp_eq_u32_e64 s[0:1], 3, v15
	v_lshrrev_b32_e32 v3, 2, v3
	v_and_b32_e32 v16, 7, v13
	s_or_b64 vcc, s[0:1], vcc
	v_cmp_lt_i32_e64 s[2:3], 5, v16
	v_cmp_eq_u32_e64 s[4:5], 3, v16
	v_addc_co_u32_e32 v3, vcc, 0, v3, vcc
	v_lshrrev_b32_e32 v13, 2, v13
	s_or_b64 vcc, s[4:5], s[2:3]
	v_addc_co_u32_e32 v13, vcc, 0, v13, vcc
	v_cmp_gt_i32_e32 vcc, 31, v7
	v_cndmask_b32_e32 v3, v8, v3, vcc
	v_cmp_gt_i32_e32 vcc, 31, v14
	v_lshl_or_b32 v1, v1, 9, v8
	v_cndmask_b32_e32 v13, v8, v13, vcc
	v_cmp_eq_u32_e32 vcc, s17, v7
	v_lshrrev_b32_e32 v4, 16, v4
	v_lshl_or_b32 v9, v9, 9, v8
	v_cndmask_b32_e32 v1, v3, v1, vcc
	v_cmp_eq_u32_e32 vcc, s17, v14
	v_lshrrev_b32_e32 v10, 16, v10
	v_cndmask_b32_e32 v3, v13, v9, vcc
	v_and_or_b32 v1, v4, s18, v1
	v_and_or_b32 v3, v10, s18, v3
	v_and_b32_e32 v1, 0xffff, v1
	v_lshl_or_b32 v1, v3, 16, v1
	global_store_dword v[5:6], v1, off
	global_load_dword v1, v[11:12], off offset:3072
	v_lshrrev_b32_e32 v3, 16, v2
	s_waitcnt vmcnt(0)
	v_mul_f16_sdwa v4, v3, v1 dst_sel:DWORD dst_unused:UNUSED_PAD src0_sel:DWORD src1_sel:WORD_1
	v_fma_f16 v4, v2, v1, v4
	v_mul_f16_sdwa v2, v2, v1 dst_sel:DWORD dst_unused:UNUSED_PAD src0_sel:DWORD src1_sel:WORD_1
	v_cvt_f32_f16_e32 v4, v4
	v_fma_f16 v1, v1, v3, -v2
	v_cvt_f32_f16_e32 v3, v1
	v_cvt_f64_f32_e32 v[1:2], v4
	v_cvt_f64_f32_e32 v[3:4], v3
	v_mul_f64 v[1:2], v[1:2], s[14:15]
	v_mul_f64 v[3:4], v[3:4], s[14:15]
	v_and_or_b32 v1, v2, s19, v1
	v_cmp_ne_u32_e32 vcc, 0, v1
	v_and_or_b32 v3, v4, s19, v3
	v_lshrrev_b32_e32 v7, 8, v2
	v_bfe_u32 v9, v2, 20, 11
	v_cndmask_b32_e64 v1, 0, 1, vcc
	v_cmp_ne_u32_e32 vcc, 0, v3
	v_lshrrev_b32_e32 v10, 8, v4
	v_bfe_u32 v11, v4, 20, 11
	v_sub_u32_e32 v12, 0x3f1, v9
	v_cndmask_b32_e64 v3, 0, 1, vcc
	v_and_or_b32 v1, v7, s16, v1
	v_sub_u32_e32 v13, 0x3f1, v11
	v_med3_i32 v7, v12, 0, 13
	v_and_or_b32 v3, v10, s16, v3
	v_or_b32_e32 v12, 0x1000, v1
	v_add_u32_e32 v9, 0xfffffc10, v9
	v_med3_i32 v10, v13, 0, 13
	v_cmp_ne_u32_e32 vcc, 0, v1
	v_or_b32_e32 v14, 0x1000, v3
	v_lshrrev_b32_e32 v16, v7, v12
	v_add_u32_e32 v11, 0xfffffc10, v11
	v_lshl_or_b32 v13, v9, 12, v1
	v_cndmask_b32_e64 v1, 0, 1, vcc
	v_cmp_ne_u32_e32 vcc, 0, v3
	v_lshrrev_b32_e32 v17, v10, v14
	v_lshlrev_b32_e32 v7, v7, v16
	v_lshl_or_b32 v15, v11, 12, v3
	v_cndmask_b32_e64 v3, 0, 1, vcc
	v_lshlrev_b32_e32 v10, v10, v17
	v_cmp_ne_u32_e32 vcc, v7, v12
	v_cndmask_b32_e64 v7, 0, 1, vcc
	v_cmp_ne_u32_e32 vcc, v10, v14
	v_cndmask_b32_e64 v10, 0, 1, vcc
	v_or_b32_e32 v7, v16, v7
	v_cmp_gt_i32_e32 vcc, 1, v9
	v_cndmask_b32_e32 v7, v13, v7, vcc
	v_or_b32_e32 v10, v17, v10
	v_cmp_gt_i32_e32 vcc, 1, v11
	v_and_b32_e32 v12, 7, v7
	v_cndmask_b32_e32 v10, v15, v10, vcc
	v_cmp_lt_i32_e32 vcc, 5, v12
	v_cmp_eq_u32_e64 s[0:1], 3, v12
	v_lshrrev_b32_e32 v7, 2, v7
	v_and_b32_e32 v13, 7, v10
	s_or_b64 vcc, s[0:1], vcc
	v_cmp_lt_i32_e64 s[2:3], 5, v13
	v_cmp_eq_u32_e64 s[4:5], 3, v13
	v_addc_co_u32_e32 v7, vcc, 0, v7, vcc
	v_lshrrev_b32_e32 v10, 2, v10
	s_or_b64 vcc, s[4:5], s[2:3]
	v_addc_co_u32_e32 v10, vcc, 0, v10, vcc
	v_cmp_gt_i32_e32 vcc, 31, v9
	v_cndmask_b32_e32 v7, v8, v7, vcc
	v_cmp_gt_i32_e32 vcc, 31, v11
	v_lshl_or_b32 v1, v1, 9, v8
	v_lshl_or_b32 v3, v3, 9, v8
	v_cndmask_b32_e32 v8, v8, v10, vcc
	v_cmp_eq_u32_e32 vcc, s17, v9
	v_lshrrev_b32_e32 v2, 16, v2
	v_cndmask_b32_e32 v1, v7, v1, vcc
	v_cmp_eq_u32_e32 vcc, s17, v11
	v_lshrrev_b32_e32 v4, 16, v4
	v_cndmask_b32_e32 v3, v8, v3, vcc
	v_and_or_b32 v1, v2, s18, v1
	v_and_or_b32 v2, v4, s18, v3
	v_and_b32_e32 v1, 0xffff, v1
	v_lshl_or_b32 v3, v2, 16, v1
	v_add_co_u32_e32 v1, vcc, s10, v5
	v_addc_co_u32_e32 v2, vcc, v6, v0, vcc
	global_store_dword v[1:2], v3, off
.LBB0_39:
	s_endpgm
	.section	.rodata,"a",@progbits
	.p2align	6, 0x0
	.amdhsa_kernel bluestein_single_fwd_len9216_dim1_half_op_CI_CI
		.amdhsa_group_segment_fixed_size 36864
		.amdhsa_private_segment_fixed_size 24
		.amdhsa_kernarg_size 104
		.amdhsa_user_sgpr_count 6
		.amdhsa_user_sgpr_private_segment_buffer 1
		.amdhsa_user_sgpr_dispatch_ptr 0
		.amdhsa_user_sgpr_queue_ptr 0
		.amdhsa_user_sgpr_kernarg_segment_ptr 1
		.amdhsa_user_sgpr_dispatch_id 0
		.amdhsa_user_sgpr_flat_scratch_init 0
		.amdhsa_user_sgpr_private_segment_size 0
		.amdhsa_uses_dynamic_stack 0
		.amdhsa_system_sgpr_private_segment_wavefront_offset 1
		.amdhsa_system_sgpr_workgroup_id_x 1
		.amdhsa_system_sgpr_workgroup_id_y 0
		.amdhsa_system_sgpr_workgroup_id_z 0
		.amdhsa_system_sgpr_workgroup_info 0
		.amdhsa_system_vgpr_workitem_id 0
		.amdhsa_next_free_vgpr 128
		.amdhsa_next_free_sgpr 24
		.amdhsa_reserve_vcc 1
		.amdhsa_reserve_flat_scratch 0
		.amdhsa_float_round_mode_32 0
		.amdhsa_float_round_mode_16_64 0
		.amdhsa_float_denorm_mode_32 3
		.amdhsa_float_denorm_mode_16_64 3
		.amdhsa_dx10_clamp 1
		.amdhsa_ieee_mode 1
		.amdhsa_fp16_overflow 0
		.amdhsa_exception_fp_ieee_invalid_op 0
		.amdhsa_exception_fp_denorm_src 0
		.amdhsa_exception_fp_ieee_div_zero 0
		.amdhsa_exception_fp_ieee_overflow 0
		.amdhsa_exception_fp_ieee_underflow 0
		.amdhsa_exception_fp_ieee_inexact 0
		.amdhsa_exception_int_div_zero 0
	.end_amdhsa_kernel
	.text
.Lfunc_end0:
	.size	bluestein_single_fwd_len9216_dim1_half_op_CI_CI, .Lfunc_end0-bluestein_single_fwd_len9216_dim1_half_op_CI_CI
                                        ; -- End function
	.section	.AMDGPU.csdata,"",@progbits
; Kernel info:
; codeLenInByte = 31872
; NumSgprs: 28
; NumVgprs: 128
; ScratchSize: 24
; MemoryBound: 0
; FloatMode: 240
; IeeeMode: 1
; LDSByteSize: 36864 bytes/workgroup (compile time only)
; SGPRBlocks: 3
; VGPRBlocks: 31
; NumSGPRsForWavesPerEU: 28
; NumVGPRsForWavesPerEU: 128
; Occupancy: 2
; WaveLimiterHint : 1
; COMPUTE_PGM_RSRC2:SCRATCH_EN: 1
; COMPUTE_PGM_RSRC2:USER_SGPR: 6
; COMPUTE_PGM_RSRC2:TRAP_HANDLER: 0
; COMPUTE_PGM_RSRC2:TGID_X_EN: 1
; COMPUTE_PGM_RSRC2:TGID_Y_EN: 0
; COMPUTE_PGM_RSRC2:TGID_Z_EN: 0
; COMPUTE_PGM_RSRC2:TIDIG_COMP_CNT: 0
	.type	__hip_cuid_69e9f7c1c95947c1,@object ; @__hip_cuid_69e9f7c1c95947c1
	.section	.bss,"aw",@nobits
	.globl	__hip_cuid_69e9f7c1c95947c1
__hip_cuid_69e9f7c1c95947c1:
	.byte	0                               ; 0x0
	.size	__hip_cuid_69e9f7c1c95947c1, 1

	.ident	"AMD clang version 19.0.0git (https://github.com/RadeonOpenCompute/llvm-project roc-6.4.0 25133 c7fe45cf4b819c5991fe208aaa96edf142730f1d)"
	.section	".note.GNU-stack","",@progbits
	.addrsig
	.addrsig_sym __hip_cuid_69e9f7c1c95947c1
	.amdgpu_metadata
---
amdhsa.kernels:
  - .args:
      - .actual_access:  read_only
        .address_space:  global
        .offset:         0
        .size:           8
        .value_kind:     global_buffer
      - .actual_access:  read_only
        .address_space:  global
        .offset:         8
        .size:           8
        .value_kind:     global_buffer
      - .actual_access:  read_only
        .address_space:  global
        .offset:         16
        .size:           8
        .value_kind:     global_buffer
      - .actual_access:  read_only
        .address_space:  global
        .offset:         24
        .size:           8
        .value_kind:     global_buffer
      - .actual_access:  read_only
        .address_space:  global
        .offset:         32
        .size:           8
        .value_kind:     global_buffer
      - .offset:         40
        .size:           8
        .value_kind:     by_value
      - .address_space:  global
        .offset:         48
        .size:           8
        .value_kind:     global_buffer
      - .address_space:  global
        .offset:         56
        .size:           8
        .value_kind:     global_buffer
      - .address_space:  global
        .offset:         64
        .size:           8
        .value_kind:     global_buffer
      - .address_space:  global
        .offset:         72
        .size:           8
        .value_kind:     global_buffer
      - .offset:         80
        .size:           4
        .value_kind:     by_value
      - .address_space:  global
        .offset:         88
        .size:           8
        .value_kind:     global_buffer
      - .address_space:  global
        .offset:         96
        .size:           8
        .value_kind:     global_buffer
    .group_segment_fixed_size: 36864
    .kernarg_segment_align: 8
    .kernarg_segment_size: 104
    .language:       OpenCL C
    .language_version:
      - 2
      - 0
    .max_flat_workgroup_size: 512
    .name:           bluestein_single_fwd_len9216_dim1_half_op_CI_CI
    .private_segment_fixed_size: 24
    .sgpr_count:     28
    .sgpr_spill_count: 0
    .symbol:         bluestein_single_fwd_len9216_dim1_half_op_CI_CI.kd
    .uniform_work_group_size: 1
    .uses_dynamic_stack: false
    .vgpr_count:     128
    .vgpr_spill_count: 5
    .wavefront_size: 64
amdhsa.target:   amdgcn-amd-amdhsa--gfx906
amdhsa.version:
  - 1
  - 2
...

	.end_amdgpu_metadata
